;; amdgpu-corpus repo=ROCm/rocFFT kind=compiled arch=gfx1030 opt=O3
	.text
	.amdgcn_target "amdgcn-amd-amdhsa--gfx1030"
	.amdhsa_code_object_version 6
	.protected	fft_rtc_fwd_len2197_factors_13_13_13_wgs_169_tpt_169_halfLds_dp_op_CI_CI_unitstride_sbrr_dirReg ; -- Begin function fft_rtc_fwd_len2197_factors_13_13_13_wgs_169_tpt_169_halfLds_dp_op_CI_CI_unitstride_sbrr_dirReg
	.globl	fft_rtc_fwd_len2197_factors_13_13_13_wgs_169_tpt_169_halfLds_dp_op_CI_CI_unitstride_sbrr_dirReg
	.p2align	8
	.type	fft_rtc_fwd_len2197_factors_13_13_13_wgs_169_tpt_169_halfLds_dp_op_CI_CI_unitstride_sbrr_dirReg,@function
fft_rtc_fwd_len2197_factors_13_13_13_wgs_169_tpt_169_halfLds_dp_op_CI_CI_unitstride_sbrr_dirReg: ; @fft_rtc_fwd_len2197_factors_13_13_13_wgs_169_tpt_169_halfLds_dp_op_CI_CI_unitstride_sbrr_dirReg
; %bb.0:
	s_clause 0x2
	s_load_dwordx4 s[12:15], s[4:5], 0x0
	s_load_dwordx4 s[8:11], s[4:5], 0x58
	;; [unrolled: 1-line block ×3, first 2 shown]
	v_mul_u32_u24_e32 v2, 0x184, v0
	v_mov_b32_e32 v1, 0
	v_mov_b32_e32 v4, 0
	;; [unrolled: 1-line block ×3, first 2 shown]
	v_add_nc_u32_sdwa v6, s6, v2 dst_sel:DWORD dst_unused:UNUSED_PAD src0_sel:DWORD src1_sel:WORD_1
	v_mov_b32_e32 v7, v1
	s_waitcnt lgkmcnt(0)
	v_cmp_lt_u64_e64 s0, s[14:15], 2
	s_and_b32 vcc_lo, exec_lo, s0
	s_cbranch_vccnz .LBB0_8
; %bb.1:
	s_load_dwordx2 s[0:1], s[4:5], 0x10
	v_mov_b32_e32 v4, 0
	v_mov_b32_e32 v5, 0
	s_add_u32 s2, s18, 8
	s_addc_u32 s3, s19, 0
	s_add_u32 s6, s16, 8
	s_addc_u32 s7, s17, 0
	v_mov_b32_e32 v53, v5
	v_mov_b32_e32 v52, v4
	s_mov_b64 s[22:23], 1
	s_waitcnt lgkmcnt(0)
	s_add_u32 s20, s0, 8
	s_addc_u32 s21, s1, 0
.LBB0_2:                                ; =>This Inner Loop Header: Depth=1
	s_load_dwordx2 s[24:25], s[20:21], 0x0
                                        ; implicit-def: $vgpr54_vgpr55
	s_mov_b32 s0, exec_lo
	s_waitcnt lgkmcnt(0)
	v_or_b32_e32 v2, s25, v7
	v_cmpx_ne_u64_e32 0, v[1:2]
	s_xor_b32 s1, exec_lo, s0
	s_cbranch_execz .LBB0_4
; %bb.3:                                ;   in Loop: Header=BB0_2 Depth=1
	v_cvt_f32_u32_e32 v2, s24
	v_cvt_f32_u32_e32 v3, s25
	s_sub_u32 s0, 0, s24
	s_subb_u32 s26, 0, s25
	v_fmac_f32_e32 v2, 0x4f800000, v3
	v_rcp_f32_e32 v2, v2
	v_mul_f32_e32 v2, 0x5f7ffffc, v2
	v_mul_f32_e32 v3, 0x2f800000, v2
	v_trunc_f32_e32 v3, v3
	v_fmac_f32_e32 v2, 0xcf800000, v3
	v_cvt_u32_f32_e32 v3, v3
	v_cvt_u32_f32_e32 v2, v2
	v_mul_lo_u32 v8, s0, v3
	v_mul_hi_u32 v9, s0, v2
	v_mul_lo_u32 v10, s26, v2
	v_add_nc_u32_e32 v8, v9, v8
	v_mul_lo_u32 v9, s0, v2
	v_add_nc_u32_e32 v8, v8, v10
	v_mul_hi_u32 v10, v2, v9
	v_mul_lo_u32 v11, v2, v8
	v_mul_hi_u32 v12, v2, v8
	v_mul_hi_u32 v13, v3, v9
	v_mul_lo_u32 v9, v3, v9
	v_mul_hi_u32 v14, v3, v8
	v_mul_lo_u32 v8, v3, v8
	v_add_co_u32 v10, vcc_lo, v10, v11
	v_add_co_ci_u32_e32 v11, vcc_lo, 0, v12, vcc_lo
	v_add_co_u32 v9, vcc_lo, v10, v9
	v_add_co_ci_u32_e32 v9, vcc_lo, v11, v13, vcc_lo
	v_add_co_ci_u32_e32 v10, vcc_lo, 0, v14, vcc_lo
	v_add_co_u32 v8, vcc_lo, v9, v8
	v_add_co_ci_u32_e32 v9, vcc_lo, 0, v10, vcc_lo
	v_add_co_u32 v2, vcc_lo, v2, v8
	v_add_co_ci_u32_e32 v3, vcc_lo, v3, v9, vcc_lo
	v_mul_hi_u32 v8, s0, v2
	v_mul_lo_u32 v10, s26, v2
	v_mul_lo_u32 v9, s0, v3
	v_add_nc_u32_e32 v8, v8, v9
	v_mul_lo_u32 v9, s0, v2
	v_add_nc_u32_e32 v8, v8, v10
	v_mul_hi_u32 v10, v2, v9
	v_mul_lo_u32 v11, v2, v8
	v_mul_hi_u32 v12, v2, v8
	v_mul_hi_u32 v13, v3, v9
	v_mul_lo_u32 v9, v3, v9
	v_mul_hi_u32 v14, v3, v8
	v_mul_lo_u32 v8, v3, v8
	v_add_co_u32 v10, vcc_lo, v10, v11
	v_add_co_ci_u32_e32 v11, vcc_lo, 0, v12, vcc_lo
	v_add_co_u32 v9, vcc_lo, v10, v9
	v_add_co_ci_u32_e32 v9, vcc_lo, v11, v13, vcc_lo
	v_add_co_ci_u32_e32 v10, vcc_lo, 0, v14, vcc_lo
	v_add_co_u32 v8, vcc_lo, v9, v8
	v_add_co_ci_u32_e32 v9, vcc_lo, 0, v10, vcc_lo
	v_add_co_u32 v8, vcc_lo, v2, v8
	v_add_co_ci_u32_e32 v10, vcc_lo, v3, v9, vcc_lo
	v_mul_hi_u32 v12, v6, v8
	v_mad_u64_u32 v[8:9], null, v7, v8, 0
	v_mad_u64_u32 v[2:3], null, v6, v10, 0
	;; [unrolled: 1-line block ×3, first 2 shown]
	v_add_co_u32 v2, vcc_lo, v12, v2
	v_add_co_ci_u32_e32 v3, vcc_lo, 0, v3, vcc_lo
	v_add_co_u32 v2, vcc_lo, v2, v8
	v_add_co_ci_u32_e32 v2, vcc_lo, v3, v9, vcc_lo
	v_add_co_ci_u32_e32 v3, vcc_lo, 0, v11, vcc_lo
	v_add_co_u32 v8, vcc_lo, v2, v10
	v_add_co_ci_u32_e32 v9, vcc_lo, 0, v3, vcc_lo
	v_mul_lo_u32 v10, s25, v8
	v_mad_u64_u32 v[2:3], null, s24, v8, 0
	v_mul_lo_u32 v11, s24, v9
	v_sub_co_u32 v2, vcc_lo, v6, v2
	v_add3_u32 v3, v3, v11, v10
	v_sub_nc_u32_e32 v10, v7, v3
	v_subrev_co_ci_u32_e64 v10, s0, s25, v10, vcc_lo
	v_add_co_u32 v11, s0, v8, 2
	v_add_co_ci_u32_e64 v12, s0, 0, v9, s0
	v_sub_co_u32 v13, s0, v2, s24
	v_sub_co_ci_u32_e32 v3, vcc_lo, v7, v3, vcc_lo
	v_subrev_co_ci_u32_e64 v10, s0, 0, v10, s0
	v_cmp_le_u32_e32 vcc_lo, s24, v13
	v_cmp_eq_u32_e64 s0, s25, v3
	v_cndmask_b32_e64 v13, 0, -1, vcc_lo
	v_cmp_le_u32_e32 vcc_lo, s25, v10
	v_cndmask_b32_e64 v14, 0, -1, vcc_lo
	v_cmp_le_u32_e32 vcc_lo, s24, v2
	;; [unrolled: 2-line block ×3, first 2 shown]
	v_cndmask_b32_e64 v15, 0, -1, vcc_lo
	v_cmp_eq_u32_e32 vcc_lo, s25, v10
	v_cndmask_b32_e64 v2, v15, v2, s0
	v_cndmask_b32_e32 v10, v14, v13, vcc_lo
	v_add_co_u32 v13, vcc_lo, v8, 1
	v_add_co_ci_u32_e32 v14, vcc_lo, 0, v9, vcc_lo
	v_cmp_ne_u32_e32 vcc_lo, 0, v10
	v_cndmask_b32_e32 v3, v14, v12, vcc_lo
	v_cndmask_b32_e32 v10, v13, v11, vcc_lo
	v_cmp_ne_u32_e32 vcc_lo, 0, v2
	v_cndmask_b32_e32 v55, v9, v3, vcc_lo
	v_cndmask_b32_e32 v54, v8, v10, vcc_lo
.LBB0_4:                                ;   in Loop: Header=BB0_2 Depth=1
	s_andn2_saveexec_b32 s0, s1
	s_cbranch_execz .LBB0_6
; %bb.5:                                ;   in Loop: Header=BB0_2 Depth=1
	v_cvt_f32_u32_e32 v2, s24
	s_sub_i32 s1, 0, s24
	v_mov_b32_e32 v55, v1
	v_rcp_iflag_f32_e32 v2, v2
	v_mul_f32_e32 v2, 0x4f7ffffe, v2
	v_cvt_u32_f32_e32 v2, v2
	v_mul_lo_u32 v3, s1, v2
	v_mul_hi_u32 v3, v2, v3
	v_add_nc_u32_e32 v2, v2, v3
	v_mul_hi_u32 v2, v6, v2
	v_mul_lo_u32 v3, v2, s24
	v_add_nc_u32_e32 v8, 1, v2
	v_sub_nc_u32_e32 v3, v6, v3
	v_subrev_nc_u32_e32 v9, s24, v3
	v_cmp_le_u32_e32 vcc_lo, s24, v3
	v_cndmask_b32_e32 v3, v3, v9, vcc_lo
	v_cndmask_b32_e32 v2, v2, v8, vcc_lo
	v_cmp_le_u32_e32 vcc_lo, s24, v3
	v_add_nc_u32_e32 v8, 1, v2
	v_cndmask_b32_e32 v54, v2, v8, vcc_lo
.LBB0_6:                                ;   in Loop: Header=BB0_2 Depth=1
	s_or_b32 exec_lo, exec_lo, s0
	v_mul_lo_u32 v8, v55, s24
	v_mul_lo_u32 v9, v54, s25
	s_load_dwordx2 s[0:1], s[6:7], 0x0
	v_mad_u64_u32 v[2:3], null, v54, s24, 0
	s_load_dwordx2 s[24:25], s[2:3], 0x0
	s_add_u32 s22, s22, 1
	s_addc_u32 s23, s23, 0
	s_add_u32 s2, s2, 8
	s_addc_u32 s3, s3, 0
	s_add_u32 s6, s6, 8
	v_add3_u32 v3, v3, v9, v8
	v_sub_co_u32 v2, vcc_lo, v6, v2
	s_addc_u32 s7, s7, 0
	s_add_u32 s20, s20, 8
	v_sub_co_ci_u32_e32 v3, vcc_lo, v7, v3, vcc_lo
	s_addc_u32 s21, s21, 0
	s_waitcnt lgkmcnt(0)
	v_mul_lo_u32 v6, s0, v3
	v_mul_lo_u32 v7, s1, v2
	v_mad_u64_u32 v[4:5], null, s0, v2, v[4:5]
	v_mul_lo_u32 v3, s24, v3
	v_mul_lo_u32 v8, s25, v2
	v_mad_u64_u32 v[52:53], null, s24, v2, v[52:53]
	v_cmp_ge_u64_e64 s0, s[22:23], s[14:15]
	v_add3_u32 v5, v7, v5, v6
	v_add3_u32 v53, v8, v53, v3
	s_and_b32 vcc_lo, exec_lo, s0
	s_cbranch_vccnz .LBB0_9
; %bb.7:                                ;   in Loop: Header=BB0_2 Depth=1
	v_mov_b32_e32 v6, v54
	v_mov_b32_e32 v7, v55
	s_branch .LBB0_2
.LBB0_8:
	v_mov_b32_e32 v53, v5
	v_mov_b32_e32 v55, v7
	;; [unrolled: 1-line block ×4, first 2 shown]
.LBB0_9:
	s_load_dwordx2 s[0:1], s[4:5], 0x28
	v_mul_hi_u32 v1, 0x183c978, v0
	s_lshl_b64 s[2:3], s[14:15], 3
                                        ; implicit-def: $sgpr4_sgpr5
                                        ; implicit-def: $vgpr58
	s_add_u32 s42, s18, s2
	s_addc_u32 s43, s19, s3
	s_waitcnt lgkmcnt(0)
	v_cmp_gt_u64_e32 vcc_lo, s[0:1], v[54:55]
	v_cmp_le_u64_e64 s0, s[0:1], v[54:55]
	s_and_saveexec_b32 s1, s0
	s_xor_b32 s0, exec_lo, s1
; %bb.10:
	v_mul_u32_u24_e32 v1, 0xa9, v1
	s_mov_b64 s[4:5], 0
                                        ; implicit-def: $vgpr4_vgpr5
	v_sub_nc_u32_e32 v58, v0, v1
                                        ; implicit-def: $vgpr1
                                        ; implicit-def: $vgpr0
; %bb.11:
	s_or_saveexec_b32 s1, s0
	v_mov_b32_e32 v57, s5
	v_mov_b32_e32 v56, s4
                                        ; implicit-def: $vgpr6_vgpr7
                                        ; implicit-def: $vgpr10_vgpr11
                                        ; implicit-def: $vgpr22_vgpr23
                                        ; implicit-def: $vgpr46_vgpr47
                                        ; implicit-def: $vgpr50_vgpr51
                                        ; implicit-def: $vgpr42_vgpr43
                                        ; implicit-def: $vgpr38_vgpr39
                                        ; implicit-def: $vgpr34_vgpr35
                                        ; implicit-def: $vgpr30_vgpr31
                                        ; implicit-def: $vgpr14_vgpr15
                                        ; implicit-def: $vgpr2_vgpr3
                                        ; implicit-def: $vgpr26_vgpr27
                                        ; implicit-def: $vgpr18_vgpr19
	s_xor_b32 exec_lo, exec_lo, s1
	s_cbranch_execz .LBB0_13
; %bb.12:
	s_add_u32 s2, s16, s2
	s_addc_u32 s3, s17, s3
	v_mov_b32_e32 v59, 0
	s_load_dwordx2 s[2:3], s[2:3], 0x0
	s_waitcnt lgkmcnt(0)
	v_mul_lo_u32 v6, s3, v54
	v_mul_lo_u32 v7, s2, v55
	v_mad_u64_u32 v[2:3], null, s2, v54, 0
	v_add3_u32 v3, v3, v7, v6
	v_mul_u32_u24_e32 v6, 0xa9, v1
	v_lshlrev_b64 v[1:2], 4, v[2:3]
	v_lshlrev_b64 v[3:4], 4, v[4:5]
	v_sub_nc_u32_e32 v58, v0, v6
	v_add_co_u32 v0, s0, s8, v1
	v_add_co_ci_u32_e64 v1, s0, s9, v2, s0
	v_lshlrev_b32_e32 v2, 4, v58
	v_add_co_u32 v0, s0, v0, v3
	v_add_co_ci_u32_e64 v1, s0, v1, v4, s0
	v_add_co_u32 v4, s0, v0, v2
	v_add_co_ci_u32_e64 v5, s0, 0, v1, s0
	;; [unrolled: 2-line block ×9, first 2 shown]
	s_clause 0x7
	global_load_dwordx4 v[16:19], v[4:5], off
	global_load_dwordx4 v[24:27], v[0:1], off offset:656
	global_load_dwordx4 v[0:3], v[2:3], off offset:1312
	global_load_dwordx4 v[12:15], v[6:7], off offset:1968
	global_load_dwordx4 v[28:31], v[8:9], off offset:576
	global_load_dwordx4 v[32:35], v[10:11], off offset:1232
	global_load_dwordx4 v[36:39], v[20:21], off offset:1888
	global_load_dwordx4 v[40:43], v[22:23], off offset:496
	v_add_co_u32 v6, s0, 0x5000, v4
	v_add_co_ci_u32_e64 v7, s0, 0, v5, s0
	v_add_co_u32 v8, s0, 0x5800, v4
	v_add_co_ci_u32_e64 v9, s0, 0, v5, s0
	;; [unrolled: 2-line block ×5, first 2 shown]
	s_clause 0x4
	global_load_dwordx4 v[48:51], v[6:7], off offset:1152
	global_load_dwordx4 v[44:47], v[8:9], off offset:1808
	;; [unrolled: 1-line block ×5, first 2 shown]
	v_mov_b32_e32 v56, v58
	v_mov_b32_e32 v57, v59
.LBB0_13:
	s_or_b32 exec_lo, exec_lo, s1
	s_waitcnt vmcnt(11)
	v_add_f64 v[59:60], v[24:25], v[16:17]
	v_add_f64 v[61:62], v[26:27], v[18:19]
	s_waitcnt vmcnt(5)
	v_add_f64 v[79:80], v[40:41], v[36:37]
	v_add_f64 v[69:70], v[38:39], -v[42:43]
	s_waitcnt vmcnt(4)
	v_add_f64 v[71:72], v[34:35], -v[50:51]
	s_waitcnt vmcnt(3)
	v_add_f64 v[73:74], v[30:31], -v[46:47]
	s_mov_b32 s0, 0xe00740e9
	s_mov_b32 s24, 0x1ea71119
	;; [unrolled: 1-line block ×12, first 2 shown]
	v_add_f64 v[81:82], v[48:49], v[32:33]
	v_add_f64 v[83:84], v[44:45], v[28:29]
	s_mov_b32 s40, 0x4267c47c
	s_mov_b32 s28, 0x42a4c3d2
	v_add_f64 v[59:60], v[0:1], v[59:60]
	v_add_f64 v[61:62], v[2:3], v[61:62]
	s_mov_b32 s26, 0x66966769
	s_mov_b32 s20, 0x2ef20147
	;; [unrolled: 1-line block ×20, first 2 shown]
	v_add_f64 v[59:60], v[12:13], v[59:60]
	v_add_f64 v[61:62], v[14:15], v[61:62]
	s_mov_b32 s30, s22
	s_mov_b32 s38, s16
	s_waitcnt vmcnt(1)
	v_add_f64 v[121:122], v[8:9], v[0:1]
	v_mad_u32_u24 v139, 0x68, v58, 0
	s_load_dwordx2 s[42:43], s[42:43], 0x0
	v_add_f64 v[59:60], v[28:29], v[59:60]
	v_add_f64 v[61:62], v[30:31], v[61:62]
	v_add_f64 v[28:29], v[28:29], -v[44:45]
	v_add_f64 v[59:60], v[32:33], v[59:60]
	v_add_f64 v[63:64], v[34:35], v[61:62]
	v_add_f64 v[32:33], v[32:33], -v[48:49]
	v_add_f64 v[61:62], v[36:37], v[59:60]
	v_add_f64 v[63:64], v[38:39], v[63:64]
	;; [unrolled: 1-line block ×3, first 2 shown]
	v_add_f64 v[36:37], v[36:37], -v[40:41]
	v_add_f64 v[38:39], v[50:51], v[34:35]
	v_add_f64 v[34:35], v[46:47], v[30:31]
	s_waitcnt vmcnt(0)
	v_add_f64 v[30:31], v[4:5], v[24:25]
	v_add_f64 v[24:25], v[24:25], -v[4:5]
	v_add_f64 v[40:41], v[40:41], v[61:62]
	v_add_f64 v[42:43], v[42:43], v[63:64]
	v_mul_f64 v[75:76], v[24:25], s[14:15]
	v_mul_f64 v[77:78], v[24:25], s[34:35]
	;; [unrolled: 1-line block ×3, first 2 shown]
	v_add_f64 v[40:41], v[48:49], v[40:41]
	v_add_f64 v[42:43], v[50:51], v[42:43]
	v_mul_f64 v[48:49], v[30:31], s[18:19]
	v_mul_f64 v[50:51], v[30:31], s[8:9]
	v_add_f64 v[89:90], v[44:45], v[40:41]
	v_add_f64 v[91:92], v[46:47], v[42:43]
	;; [unrolled: 1-line block ×3, first 2 shown]
	v_add_f64 v[26:27], v[26:27], -v[6:7]
	v_mul_f64 v[42:43], v[30:31], s[0:1]
	v_mul_f64 v[44:45], v[30:31], s[24:25]
	;; [unrolled: 1-line block ×4, first 2 shown]
	v_fma_f64 v[101:102], v[40:41], s[6:7], v[75:76]
	v_fma_f64 v[67:68], v[26:27], s[20:21], v[48:49]
	;; [unrolled: 1-line block ×13, first 2 shown]
	v_mul_f64 v[26:27], v[24:25], s[2:3]
	v_mul_f64 v[48:49], v[24:25], s[36:37]
	v_mul_f64 v[24:25], v[24:25], s[38:39]
	v_fma_f64 v[103:104], v[40:41], s[6:7], -v[75:76]
	v_fma_f64 v[105:106], v[40:41], s[18:19], v[77:78]
	v_fma_f64 v[107:108], v[40:41], s[18:19], -v[77:78]
	v_fma_f64 v[109:110], v[40:41], s[8:9], v[85:86]
	v_fma_f64 v[111:112], v[40:41], s[8:9], -v[85:86]
	v_add_f64 v[117:118], v[16:17], v[61:62]
	v_add_f64 v[77:78], v[16:17], v[42:43]
	;; [unrolled: 1-line block ×7, first 2 shown]
	v_fma_f64 v[87:88], v[40:41], s[0:1], v[26:27]
	v_fma_f64 v[26:27], v[40:41], s[0:1], -v[26:27]
	v_fma_f64 v[99:100], v[40:41], s[24:25], v[48:49]
	v_fma_f64 v[48:49], v[40:41], s[24:25], -v[48:49]
	;; [unrolled: 2-line block ×3, first 2 shown]
	v_add_f64 v[40:41], v[18:19], v[103:104]
	v_add_f64 v[103:104], v[16:17], v[93:94]
	v_add_f64 v[63:64], v[18:19], v[109:110]
	v_add_f64 v[61:62], v[18:19], v[111:112]
	v_add_f64 v[109:110], v[16:17], v[30:31]
	v_add_f64 v[111:112], v[20:21], v[12:13]
	v_add_f64 v[30:31], v[22:23], v[14:15]
	v_add_f64 v[75:76], v[18:19], v[87:88]
	v_add_f64 v[24:25], v[18:19], v[26:27]
	v_add_f64 v[42:43], v[18:19], v[99:100]
	v_add_f64 v[26:27], v[18:19], v[48:49]
	v_add_f64 v[99:100], v[16:17], v[65:66]
	v_add_f64 v[87:88], v[16:17], v[46:47]
	v_add_f64 v[48:49], v[18:19], v[105:106]
	v_add_f64 v[46:47], v[18:19], v[107:108]
	v_add_f64 v[105:106], v[16:17], v[95:96]
	v_add_f64 v[107:108], v[16:17], v[50:51]
	v_add_f64 v[50:51], v[12:13], -v[20:21]
	v_add_f64 v[12:13], v[14:15], -v[22:23]
	;; [unrolled: 1-line block ×3, first 2 shown]
	v_mul_f64 v[16:17], v[121:122], s[18:19]
	v_add_f64 v[65:66], v[18:19], v[113:114]
	v_add_f64 v[67:68], v[18:19], v[115:116]
	;; [unrolled: 1-line block ×4, first 2 shown]
	v_fma_f64 v[18:19], v[14:15], s[20:21], v[16:17]
	v_add_f64 v[22:23], v[18:19], v[119:120]
	v_mul_f64 v[18:19], v[121:122], s[4:5]
	v_fma_f64 v[20:21], v[14:15], s[16:17], v[18:19]
	v_add_f64 v[89:90], v[20:21], v[99:100]
	v_mul_f64 v[20:21], v[111:112], s[4:5]
	;; [unrolled: 3-line block ×9, first 2 shown]
	v_fma_f64 v[127:128], v[69:70], s[22:23], v[125:126]
	v_add_f64 v[99:100], v[127:128], v[99:100]
	ds_write2_b64 v139, v[119:120], v[99:100] offset0:2 offset1:3
	v_mul_f64 v[99:100], v[121:122], s[8:9]
	v_fma_f64 v[119:120], v[14:15], s[30:31], v[99:100]
	v_add_f64 v[101:102], v[119:120], v[101:102]
	v_mul_f64 v[119:120], v[121:122], s[6:7]
	v_fma_f64 v[127:128], v[14:15], s[14:15], v[119:120]
	v_add_f64 v[105:106], v[127:128], v[105:106]
	;; [unrolled: 3-line block ×10, first 2 shown]
	ds_write2_b64 v139, v[101:102], v[105:106] offset0:4 offset1:5
	v_add_f64 v[105:106], v[0:1], -v[8:9]
	v_add_f64 v[0:1], v[8:9], v[113:114]
	v_mul_f64 v[8:9], v[121:122], s[0:1]
	v_add_f64 v[101:102], v[10:11], v[2:3]
	v_add_f64 v[2:3], v[10:11], v[115:116]
	;; [unrolled: 1-line block ×3, first 2 shown]
	v_fma_f64 v[10:11], v[14:15], s[2:3], v[8:9]
	v_fma_f64 v[8:9], v[14:15], s[40:41], v[8:9]
	v_add_f64 v[10:11], v[10:11], v[97:98]
	v_mul_f64 v[97:98], v[111:112], s[8:9]
	v_add_f64 v[8:9], v[8:9], v[109:110]
	v_fma_f64 v[109:110], v[12:13], s[22:23], v[97:98]
	v_fma_f64 v[97:98], v[12:13], s[30:31], v[97:98]
	v_add_f64 v[10:11], v[109:110], v[10:11]
	v_add_f64 v[8:9], v[97:98], v[8:9]
	v_mul_f64 v[97:98], v[83:84], s[24:25]
	v_fma_f64 v[109:110], v[73:74], s[36:37], v[97:98]
	v_fma_f64 v[97:98], v[73:74], s[28:29], v[97:98]
	v_add_f64 v[10:11], v[109:110], v[10:11]
	v_add_f64 v[8:9], v[97:98], v[8:9]
	v_mul_f64 v[97:98], v[81:82], s[18:19]
	;; [unrolled: 5-line block ×3, first 2 shown]
	v_mul_f64 v[79:80], v[79:80], s[4:5]
	v_fma_f64 v[109:110], v[69:70], s[14:15], v[97:98]
	v_fma_f64 v[97:98], v[69:70], s[26:27], v[97:98]
	v_add_f64 v[10:11], v[109:110], v[10:11]
	v_add_f64 v[8:9], v[97:98], v[8:9]
	;; [unrolled: 1-line block ×3, first 2 shown]
	v_mul_f64 v[2:3], v[121:122], s[24:25]
	v_mul_f64 v[6:7], v[111:112], s[6:7]
	ds_write2_b64 v139, v[10:11], v[8:9] offset0:6 offset1:7
	v_fma_f64 v[4:5], v[14:15], s[28:29], v[2:3]
	v_fma_f64 v[8:9], v[12:13], s[26:27], v[6:7]
	v_add_f64 v[4:5], v[4:5], v[117:118]
	v_add_f64 v[4:5], v[8:9], v[4:5]
	v_mul_f64 v[8:9], v[83:84], s[18:19]
	v_mul_f64 v[83:84], v[105:106], s[22:23]
	v_fma_f64 v[10:11], v[73:74], s[20:21], v[8:9]
	v_add_f64 v[4:5], v[10:11], v[4:5]
	v_mul_f64 v[10:11], v[81:82], s[8:9]
	v_fma_f64 v[81:82], v[71:72], s[22:23], v[10:11]
	v_add_f64 v[4:5], v[81:82], v[4:5]
	v_fma_f64 v[81:82], v[69:70], s[16:17], v[79:80]
	v_add_f64 v[4:5], v[81:82], v[4:5]
	v_fma_f64 v[81:82], v[12:13], s[40:41], v[127:128]
	ds_write2_b64 v139, v[0:1], v[4:5] offset1:1
	v_fma_f64 v[0:1], v[14:15], s[22:23], v[99:100]
	v_fma_f64 v[4:5], v[14:15], s[26:27], v[119:120]
	v_add_f64 v[0:1], v[0:1], v[103:104]
	v_add_f64 v[4:5], v[4:5], v[107:108]
	;; [unrolled: 1-line block ×3, first 2 shown]
	v_fma_f64 v[81:82], v[12:13], s[36:37], v[129:130]
	v_add_f64 v[4:5], v[81:82], v[4:5]
	v_fma_f64 v[81:82], v[73:74], s[14:15], v[131:132]
	v_add_f64 v[0:1], v[81:82], v[0:1]
	;; [unrolled: 2-line block ×5, first 2 shown]
	v_fma_f64 v[81:82], v[69:70], s[28:29], v[140:141]
	v_mad_i32_i24 v140, 0xffffffa0, v58, v139
	v_add_nc_u32_e32 v141, 0x800, v140
	v_add_nc_u32_e32 v144, 0x2800, v140
	v_add_nc_u32_e32 v145, 0x3400, v140
	v_add_f64 v[0:1], v[81:82], v[0:1]
	v_fma_f64 v[81:82], v[69:70], s[34:35], v[142:143]
	v_add_nc_u32_e32 v142, 0x1400, v140
	v_add_nc_u32_e32 v143, 0x1e00, v140
	v_add_f64 v[4:5], v[81:82], v[4:5]
	ds_write2_b64 v139, v[4:5], v[0:1] offset0:8 offset1:9
	v_fma_f64 v[0:1], v[14:15], s[34:35], v[16:17]
	v_fma_f64 v[4:5], v[14:15], s[38:39], v[18:19]
	;; [unrolled: 1-line block ×3, first 2 shown]
	v_add_f64 v[0:1], v[0:1], v[85:86]
	v_add_f64 v[4:5], v[4:5], v[87:88]
	v_mul_f64 v[85:86], v[105:106], s[26:27]
	v_mul_f64 v[87:88], v[105:106], s[34:35]
	v_add_f64 v[0:1], v[16:17], v[0:1]
	v_fma_f64 v[16:17], v[12:13], s[20:21], v[22:23]
	v_add_f64 v[4:5], v[16:17], v[4:5]
	v_fma_f64 v[16:17], v[73:74], s[22:23], v[89:90]
	v_mul_f64 v[89:90], v[105:106], s[38:39]
	v_add_f64 v[0:1], v[16:17], v[0:1]
	v_fma_f64 v[16:17], v[73:74], s[40:41], v[91:92]
	v_fma_f64 v[99:100], v[101:102], s[4:5], v[89:90]
	v_fma_f64 v[89:90], v[101:102], s[4:5], -v[89:90]
	v_add_f64 v[4:5], v[16:17], v[4:5]
	v_fma_f64 v[16:17], v[71:72], s[26:27], v[93:94]
	v_fma_f64 v[93:94], v[101:102], s[8:9], v[83:84]
	v_fma_f64 v[83:84], v[101:102], s[8:9], -v[83:84]
	v_add_f64 v[40:41], v[89:90], v[40:41]
	v_add_f64 v[44:45], v[99:100], v[44:45]
	;; [unrolled: 1-line block ×3, first 2 shown]
	v_fma_f64 v[16:17], v[71:72], s[36:37], v[95:96]
	v_fma_f64 v[95:96], v[101:102], s[6:7], v[85:86]
	v_fma_f64 v[85:86], v[101:102], s[6:7], -v[85:86]
	v_add_f64 v[46:47], v[83:84], v[46:47]
	v_mul_f64 v[83:84], v[50:51], s[36:37]
	v_add_f64 v[48:49], v[93:94], v[48:49]
	v_add_f64 v[4:5], v[16:17], v[4:5]
	v_fma_f64 v[16:17], v[69:70], s[40:41], v[123:124]
	v_add_f64 v[61:62], v[85:86], v[61:62]
	v_mul_f64 v[85:86], v[50:51], s[38:39]
	v_add_f64 v[63:64], v[95:96], v[63:64]
	v_add_f64 v[0:1], v[16:17], v[0:1]
	v_fma_f64 v[16:17], v[69:70], s[30:31], v[125:126]
	v_fma_f64 v[93:94], v[30:31], s[4:5], v[85:86]
	v_fma_f64 v[85:86], v[30:31], s[4:5], -v[85:86]
	v_add_f64 v[4:5], v[16:17], v[4:5]
	ds_write2_b64 v139, v[4:5], v[0:1] offset0:10 offset1:11
	v_fma_f64 v[0:1], v[14:15], s[36:37], v[2:3]
	v_fma_f64 v[2:3], v[12:13], s[14:15], v[6:7]
	v_add_f64 v[0:1], v[0:1], v[77:78]
	v_mul_f64 v[77:78], v[105:106], s[36:37]
	v_add_f64 v[0:1], v[2:3], v[0:1]
	v_fma_f64 v[4:5], v[101:102], s[24:25], v[77:78]
	v_fma_f64 v[2:3], v[73:74], s[34:35], v[8:9]
	v_mul_f64 v[73:74], v[50:51], s[14:15]
	v_fma_f64 v[77:78], v[101:102], s[24:25], -v[77:78]
	v_add_f64 v[4:5], v[4:5], v[75:76]
	v_add_f64 v[0:1], v[2:3], v[0:1]
	v_fma_f64 v[6:7], v[30:31], s[6:7], v[73:74]
	v_fma_f64 v[2:3], v[71:72], s[30:31], v[10:11]
	v_mul_f64 v[71:72], v[28:29], s[34:35]
	v_mul_f64 v[75:76], v[32:33], s[30:31]
	v_add_f64 v[24:25], v[77:78], v[24:25]
	v_mul_f64 v[77:78], v[50:51], s[30:31]
	v_add_f64 v[4:5], v[6:7], v[4:5]
	v_add_f64 v[0:1], v[2:3], v[0:1]
	v_fma_f64 v[6:7], v[34:35], s[18:19], v[71:72]
	v_fma_f64 v[2:3], v[69:70], s[38:39], v[79:80]
	v_mul_f64 v[79:80], v[36:37], s[38:39]
	v_add_f64 v[4:5], v[6:7], v[4:5]
	v_fma_f64 v[6:7], v[38:39], s[8:9], v[75:76]
	v_add_f64 v[0:1], v[2:3], v[0:1]
	v_fma_f64 v[2:3], v[59:60], s[4:5], v[79:80]
	v_add_f64 v[4:5], v[6:7], v[4:5]
	ds_write_b64 v139, v[0:1] offset:96
	s_waitcnt lgkmcnt(0)
	s_barrier
	buffer_gl0_inv
	v_add_f64 v[81:82], v[2:3], v[4:5]
	ds_read_b64 v[69:70], v140 offset:16224
	ds_read2_b64 v[0:3], v140 offset1:169
	ds_read2_b64 v[20:23], v141 offset0:82 offset1:251
	ds_read2_b64 v[16:19], v142 offset0:36 offset1:205
	;; [unrolled: 1-line block ×5, first 2 shown]
	s_waitcnt lgkmcnt(0)
	s_barrier
	buffer_gl0_inv
	ds_write2_b64 v139, v[97:98], v[81:82] offset1:1
	v_mul_f64 v[81:82], v[105:106], s[40:41]
	v_fma_f64 v[97:98], v[101:102], s[18:19], v[87:88]
	v_fma_f64 v[87:88], v[101:102], s[18:19], -v[87:88]
	v_fma_f64 v[91:92], v[101:102], s[0:1], v[81:82]
	v_fma_f64 v[81:82], v[101:102], s[0:1], -v[81:82]
	v_add_f64 v[26:27], v[87:88], v[26:27]
	v_fma_f64 v[87:88], v[30:31], s[8:9], v[77:78]
	v_fma_f64 v[77:78], v[30:31], s[8:9], -v[77:78]
	v_add_f64 v[42:43], v[97:98], v[42:43]
	v_add_f64 v[65:66], v[91:92], v[65:66]
	;; [unrolled: 1-line block ×3, first 2 shown]
	v_mul_f64 v[81:82], v[50:51], s[40:41]
	v_mul_f64 v[50:51], v[50:51], s[20:21]
	v_fma_f64 v[91:92], v[30:31], s[24:25], v[83:84]
	v_fma_f64 v[83:84], v[30:31], s[24:25], -v[83:84]
	v_add_f64 v[26:27], v[85:86], v[26:27]
	v_add_f64 v[42:43], v[93:94], v[42:43]
	;; [unrolled: 1-line block ×4, first 2 shown]
	v_fma_f64 v[89:90], v[30:31], s[0:1], v[81:82]
	v_fma_f64 v[81:82], v[30:31], s[0:1], -v[81:82]
	v_fma_f64 v[95:96], v[30:31], s[18:19], v[50:51]
	v_fma_f64 v[50:51], v[30:31], s[18:19], -v[50:51]
	v_fma_f64 v[30:31], v[30:31], s[6:7], -v[73:74]
	v_mul_f64 v[73:74], v[28:29], s[16:17]
	v_mul_f64 v[77:78], v[28:29], s[22:23]
	v_add_f64 v[61:62], v[83:84], v[61:62]
	v_add_f64 v[63:64], v[91:92], v[63:64]
	;; [unrolled: 1-line block ×7, first 2 shown]
	v_mul_f64 v[30:31], v[28:29], s[28:29]
	v_mul_f64 v[50:51], v[28:29], s[14:15]
	;; [unrolled: 1-line block ×3, first 2 shown]
	v_fma_f64 v[85:86], v[34:35], s[4:5], v[73:74]
	v_fma_f64 v[73:74], v[34:35], s[4:5], -v[73:74]
	v_fma_f64 v[87:88], v[34:35], s[8:9], v[77:78]
	v_fma_f64 v[77:78], v[34:35], s[8:9], -v[77:78]
	v_fma_f64 v[81:82], v[34:35], s[24:25], v[30:31]
	v_fma_f64 v[30:31], v[34:35], s[24:25], -v[30:31]
	v_fma_f64 v[83:84], v[34:35], s[6:7], v[50:51]
	v_fma_f64 v[50:51], v[34:35], s[6:7], -v[50:51]
	v_fma_f64 v[89:90], v[34:35], s[0:1], v[28:29]
	v_fma_f64 v[28:29], v[34:35], s[0:1], -v[28:29]
	v_fma_f64 v[34:35], v[34:35], s[18:19], -v[71:72]
	v_add_f64 v[26:27], v[77:78], v[26:27]
	v_add_f64 v[42:43], v[87:88], v[42:43]
	;; [unrolled: 1-line block ×5, first 2 shown]
	v_mul_f64 v[67:68], v[32:33], s[26:27]
	v_add_f64 v[46:47], v[50:51], v[46:47]
	v_add_f64 v[50:51], v[73:74], v[61:62]
	;; [unrolled: 1-line block ×4, first 2 shown]
	v_mul_f64 v[34:35], v[32:33], s[34:35]
	v_mul_f64 v[40:41], v[32:33], s[16:17]
	;; [unrolled: 1-line block ×4, first 2 shown]
	v_add_f64 v[48:49], v[83:84], v[48:49]
	v_add_f64 v[44:45], v[89:90], v[44:45]
	v_fma_f64 v[81:82], v[38:39], s[6:7], v[67:68]
	v_fma_f64 v[67:68], v[38:39], s[6:7], -v[67:68]
	v_fma_f64 v[71:72], v[38:39], s[18:19], v[34:35]
	v_fma_f64 v[34:35], v[38:39], s[18:19], -v[34:35]
	;; [unrolled: 2-line block ×5, first 2 shown]
	v_fma_f64 v[38:39], v[38:39], s[8:9], -v[75:76]
	v_add_f64 v[42:43], v[81:82], v[42:43]
	v_add_f64 v[26:27], v[67:68], v[26:27]
	;; [unrolled: 1-line block ×6, first 2 shown]
	v_mul_f64 v[46:47], v[36:37], s[34:35]
	v_add_f64 v[40:41], v[61:62], v[50:51]
	v_mul_f64 v[50:51], v[36:37], s[40:41]
	v_add_f64 v[28:29], v[32:33], v[28:29]
	v_add_f64 v[24:25], v[38:39], v[24:25]
	v_mul_f64 v[32:33], v[36:37], s[26:27]
	v_mul_f64 v[38:39], v[36:37], s[28:29]
	;; [unrolled: 1-line block ×3, first 2 shown]
	v_add_f64 v[44:45], v[83:84], v[44:45]
	v_add_f64 v[63:64], v[77:78], v[63:64]
	v_fma_f64 v[71:72], v[59:60], s[18:19], v[46:47]
	v_fma_f64 v[46:47], v[59:60], s[18:19], -v[46:47]
	v_fma_f64 v[73:74], v[59:60], s[0:1], v[50:51]
	v_fma_f64 v[50:51], v[59:60], s[0:1], -v[50:51]
	v_fma_f64 v[61:62], v[59:60], s[6:7], v[32:33]
	v_fma_f64 v[67:68], v[59:60], s[24:25], v[38:39]
	;; [unrolled: 1-line block ×3, first 2 shown]
	v_fma_f64 v[36:37], v[59:60], s[8:9], -v[36:37]
	v_fma_f64 v[32:33], v[59:60], s[6:7], -v[32:33]
	;; [unrolled: 1-line block ×4, first 2 shown]
	v_add_f64 v[63:64], v[71:72], v[63:64]
	v_add_f64 v[42:43], v[73:74], v[42:43]
	;; [unrolled: 1-line block ×7, first 2 shown]
	v_and_b32_e32 v36, 0xff, v58
	v_add_f64 v[30:31], v[32:33], v[30:31]
	v_add_f64 v[32:33], v[38:39], v[34:35]
	;; [unrolled: 1-line block ×4, first 2 shown]
	v_mul_lo_u16 v36, 0x4f, v36
	v_lshrrev_b16 v146, 10, v36
	v_mul_lo_u16 v36, v146, 13
	v_sub_nc_u16 v147, v58, v36
	v_mov_b32_e32 v36, 12
	ds_write2_b64 v139, v[42:43], v[44:45] offset0:2 offset1:3
	ds_write2_b64 v139, v[48:49], v[63:64] offset0:4 offset1:5
	;; [unrolled: 1-line block ×5, first 2 shown]
	v_mul_u32_u24_sdwa v36, v147, v36 dst_sel:DWORD dst_unused:UNUSED_PAD src0_sel:BYTE_0 src1_sel:DWORD
	ds_write_b64 v139, v[24:25] offset:96
	s_waitcnt lgkmcnt(0)
	s_barrier
	buffer_gl0_inv
	v_lshlrev_b32_e32 v63, 4, v36
	s_clause 0x1
	global_load_dwordx4 v[24:27], v63, s[12:13] offset:16
	global_load_dwordx4 v[30:33], v63, s[12:13] offset:32
	ds_read2_b64 v[34:37], v141 offset0:82 offset1:251
	global_load_dwordx4 v[59:62], v63, s[12:13]
	s_waitcnt vmcnt(2) lgkmcnt(0)
	v_mul_f64 v[28:29], v[34:35], v[26:27]
	v_mul_f64 v[38:39], v[20:21], v[26:27]
	v_fma_f64 v[26:27], v[20:21], v[24:25], -v[28:29]
	v_fma_f64 v[24:25], v[34:35], v[24:25], v[38:39]
	global_load_dwordx4 v[38:41], v63, s[12:13] offset:48
	s_waitcnt vmcnt(2)
	v_mul_f64 v[20:21], v[36:37], v[32:33]
	v_fma_f64 v[28:29], v[22:23], v[30:31], -v[20:21]
	v_mul_f64 v[20:21], v[22:23], v[32:33]
	ds_read2_b64 v[32:35], v142 offset0:36 offset1:205
	v_fma_f64 v[22:23], v[36:37], v[30:31], v[20:21]
	s_waitcnt vmcnt(0) lgkmcnt(0)
	v_mul_f64 v[20:21], v[32:33], v[40:41]
	v_mul_f64 v[36:37], v[16:17], v[40:41]
	v_fma_f64 v[30:31], v[16:17], v[38:39], -v[20:21]
	v_fma_f64 v[20:21], v[32:33], v[38:39], v[36:37]
	s_clause 0x1
	global_load_dwordx4 v[36:39], v63, s[12:13] offset:64
	global_load_dwordx4 v[40:43], v63, s[12:13] offset:80
	s_waitcnt vmcnt(1)
	v_mul_f64 v[16:17], v[34:35], v[38:39]
	v_fma_f64 v[32:33], v[18:19], v[36:37], -v[16:17]
	v_mul_f64 v[16:17], v[18:19], v[38:39]
	v_fma_f64 v[16:17], v[34:35], v[36:37], v[16:17]
	ds_read2_b64 v[36:39], v143 offset0:54 offset1:223
	s_waitcnt vmcnt(0) lgkmcnt(0)
	v_mul_f64 v[18:19], v[36:37], v[42:43]
	v_fma_f64 v[34:35], v[12:13], v[40:41], -v[18:19]
	v_mul_f64 v[12:13], v[12:13], v[42:43]
	v_fma_f64 v[18:19], v[36:37], v[40:41], v[12:13]
	s_clause 0x1
	global_load_dwordx4 v[40:43], v63, s[12:13] offset:96
	global_load_dwordx4 v[44:47], v63, s[12:13] offset:112
	s_waitcnt vmcnt(1)
	v_mul_f64 v[12:13], v[38:39], v[42:43]
	v_fma_f64 v[36:37], v[14:15], v[40:41], -v[12:13]
	v_mul_f64 v[12:13], v[14:15], v[42:43]
	v_fma_f64 v[14:15], v[38:39], v[40:41], v[12:13]
	ds_read2_b64 v[40:43], v144 offset0:72 offset1:241
	s_waitcnt vmcnt(0) lgkmcnt(0)
	v_mul_f64 v[12:13], v[40:41], v[46:47]
	v_fma_f64 v[38:39], v[8:9], v[44:45], -v[12:13]
	v_mul_f64 v[8:9], v[8:9], v[46:47]
	;; [unrolled: 14-line block ×3, first 2 shown]
	v_fma_f64 v[10:11], v[44:45], v[48:49], v[4:5]
	s_clause 0x1
	global_load_dwordx4 v[48:51], v63, s[12:13] offset:160
	global_load_dwordx4 v[63:66], v63, s[12:13] offset:176
	s_waitcnt vmcnt(1)
	v_mul_f64 v[4:5], v[46:47], v[50:51]
	v_fma_f64 v[44:45], v[6:7], v[48:49], -v[4:5]
	v_mul_f64 v[4:5], v[6:7], v[50:51]
	v_fma_f64 v[6:7], v[46:47], v[48:49], v[4:5]
	ds_read_b64 v[4:5], v140 offset:16224
	s_waitcnt vmcnt(0) lgkmcnt(0)
	v_mul_f64 v[46:47], v[4:5], v[65:66]
	v_fma_f64 v[48:49], v[69:70], v[63:64], -v[46:47]
	v_mul_f64 v[46:47], v[69:70], v[65:66]
	v_fma_f64 v[4:5], v[4:5], v[63:64], v[46:47]
	v_mul_f64 v[46:47], v[2:3], v[61:62]
	ds_read2_b64 v[63:66], v140 offset1:169
	s_waitcnt lgkmcnt(0)
	s_barrier
	buffer_gl0_inv
	v_mul_f64 v[50:51], v[65:66], v[61:62]
	v_fma_f64 v[46:47], v[65:66], v[59:60], v[46:47]
	v_fma_f64 v[2:3], v[2:3], v[59:60], -v[50:51]
	v_add_f64 v[50:51], v[46:47], -v[4:5]
	v_add_f64 v[71:72], v[2:3], v[48:49]
	v_mul_f64 v[59:60], v[50:51], s[2:3]
	v_mul_f64 v[61:62], v[50:51], s[36:37]
	;; [unrolled: 1-line block ×6, first 2 shown]
	v_fma_f64 v[73:74], v[71:72], s[0:1], -v[59:60]
	v_fma_f64 v[59:60], v[71:72], s[0:1], v[59:60]
	v_fma_f64 v[77:78], v[71:72], s[24:25], -v[61:62]
	v_fma_f64 v[61:62], v[71:72], s[24:25], v[61:62]
	;; [unrolled: 2-line block ×6, first 2 shown]
	v_add_f64 v[75:76], v[0:1], v[73:74]
	v_add_f64 v[69:70], v[0:1], v[59:60]
	;; [unrolled: 1-line block ×13, first 2 shown]
	v_add_f64 v[0:1], v[2:3], -v[48:49]
	v_add_f64 v[67:68], v[46:47], v[4:5]
	v_add_f64 v[85:86], v[63:64], v[46:47]
	;; [unrolled: 1-line block ×3, first 2 shown]
	v_mul_f64 v[61:62], v[0:1], s[34:35]
	v_mul_f64 v[2:3], v[0:1], s[2:3]
	;; [unrolled: 1-line block ×6, first 2 shown]
	v_add_f64 v[77:78], v[77:78], v[28:29]
	v_fma_f64 v[97:98], v[67:68], s[18:19], v[61:62]
	v_fma_f64 v[71:72], v[67:68], s[0:1], v[2:3]
	v_fma_f64 v[2:3], v[67:68], s[0:1], -v[2:3]
	v_fma_f64 v[73:74], v[67:68], s[24:25], v[50:51]
	v_fma_f64 v[50:51], v[67:68], s[24:25], -v[50:51]
	v_fma_f64 v[91:92], v[67:68], s[6:7], v[59:60]
	v_fma_f64 v[59:60], v[67:68], s[6:7], -v[59:60]
	v_fma_f64 v[61:62], v[67:68], s[18:19], -v[61:62]
	v_fma_f64 v[103:104], v[67:68], s[8:9], v[65:66]
	v_fma_f64 v[109:110], v[67:68], s[8:9], -v[65:66]
	v_fma_f64 v[111:112], v[67:68], s[4:5], v[0:1]
	v_fma_f64 v[113:114], v[67:68], s[4:5], -v[0:1]
	v_add_f64 v[77:78], v[77:78], v[30:31]
	v_add_f64 v[67:68], v[63:64], v[97:98]
	v_add_f64 v[97:98], v[24:25], -v[6:7]
	v_add_f64 v[79:80], v[63:64], v[71:72]
	v_add_f64 v[0:1], v[63:64], v[2:3]
	;; [unrolled: 1-line block ×12, first 2 shown]
	v_add_f64 v[26:27], v[26:27], -v[44:45]
	v_add_f64 v[77:78], v[77:78], v[32:33]
	v_mul_f64 v[103:104], v[97:98], s[34:35]
	v_add_f64 v[77:78], v[77:78], v[34:35]
	v_fma_f64 v[109:110], v[91:92], s[18:19], -v[103:104]
	v_add_f64 v[77:78], v[77:78], v[36:37]
	v_add_f64 v[113:114], v[109:110], v[105:106]
	v_mul_f64 v[105:106], v[97:98], s[38:39]
	v_add_f64 v[77:78], v[77:78], v[38:39]
	v_fma_f64 v[109:110], v[91:92], s[4:5], -v[105:106]
	v_add_f64 v[77:78], v[77:78], v[40:41]
	v_add_f64 v[115:116], v[109:110], v[107:108]
	v_add_f64 v[109:110], v[22:23], -v[10:11]
	v_add_f64 v[107:108], v[28:29], v[42:43]
	v_add_f64 v[28:29], v[28:29], -v[42:43]
	v_add_f64 v[77:78], v[77:78], v[42:43]
	v_mul_f64 v[111:112], v[109:110], s[38:39]
	v_add_f64 v[77:78], v[77:78], v[44:45]
	v_fma_f64 v[117:118], v[107:108], s[4:5], -v[111:112]
	v_add_f64 v[48:49], v[77:78], v[48:49]
	v_mul_f64 v[77:78], v[26:27], s[34:35]
	v_add_f64 v[121:122], v[117:118], v[113:114]
	v_mul_f64 v[113:114], v[109:110], s[20:21]
	v_fma_f64 v[117:118], v[107:108], s[18:19], -v[113:114]
	v_add_f64 v[123:124], v[117:118], v[115:116]
	v_add_f64 v[117:118], v[20:21], -v[8:9]
	v_add_f64 v[115:116], v[30:31], v[40:41]
	v_add_f64 v[30:31], v[30:31], -v[40:41]
	v_mul_f64 v[119:120], v[117:118], s[22:23]
	v_fma_f64 v[125:126], v[115:116], s[8:9], -v[119:120]
	v_add_f64 v[129:130], v[125:126], v[121:122]
	v_mul_f64 v[121:122], v[117:118], s[40:41]
	v_fma_f64 v[125:126], v[115:116], s[0:1], -v[121:122]
	v_add_f64 v[131:132], v[125:126], v[123:124]
	v_add_f64 v[125:126], v[16:17], -v[12:13]
	v_add_f64 v[123:124], v[32:33], v[38:39]
	v_add_f64 v[32:33], v[32:33], -v[38:39]
	v_mul_f64 v[127:128], v[125:126], s[26:27]
	v_fma_f64 v[133:134], v[123:124], s[6:7], -v[127:128]
	;; [unrolled: 9-line block ×3, first 2 shown]
	v_add_f64 v[150:151], v[150:151], v[137:138]
	v_mul_f64 v[137:138], v[133:134], s[30:31]
	v_fma_f64 v[152:153], v[131:132], s[8:9], -v[137:138]
	v_add_f64 v[148:149], v[152:153], v[148:149]
	v_mov_b32_e32 v152, 0x548
	v_mul_u32_u24_sdwa v146, v146, v152 dst_sel:DWORD dst_unused:UNUSED_PAD src0_sel:WORD_0 src1_sel:DWORD
	v_mov_b32_e32 v152, 3
	v_lshlrev_b32_sdwa v147, v152, v147 dst_sel:DWORD dst_unused:UNUSED_PAD src0_sel:DWORD src1_sel:BYTE_0
	v_add3_u32 v146, 0, v146, v147
	ds_write2_b64 v146, v[150:151], v[148:149] offset0:26 offset1:39
	v_mul_f64 v[147:148], v[97:98], s[22:23]
	v_fma_f64 v[149:150], v[91:92], s[8:9], -v[147:148]
	v_add_f64 v[101:102], v[149:150], v[101:102]
	v_mul_f64 v[149:150], v[97:98], s[26:27]
	v_fma_f64 v[151:152], v[91:92], s[6:7], -v[149:150]
	v_add_f64 v[99:100], v[151:152], v[99:100]
	;; [unrolled: 3-line block ×10, first 2 shown]
	ds_write2_b64 v146, v[101:102], v[99:100] offset0:52 offset1:65
	v_mul_f64 v[99:100], v[97:98], s[40:41]
	v_fma_f64 v[101:102], v[91:92], s[0:1], -v[99:100]
	v_fma_f64 v[99:100], v[91:92], s[0:1], v[99:100]
	v_add_f64 v[93:94], v[101:102], v[93:94]
	v_add_f64 v[95:96], v[99:100], v[95:96]
	v_mul_f64 v[99:100], v[109:110], s[30:31]
	v_fma_f64 v[101:102], v[107:108], s[8:9], -v[99:100]
	v_fma_f64 v[99:100], v[107:108], s[8:9], v[99:100]
	v_add_f64 v[93:94], v[101:102], v[93:94]
	v_add_f64 v[95:96], v[99:100], v[95:96]
	;; [unrolled: 5-line block ×5, first 2 shown]
	ds_write2_b64 v146, v[93:94], v[95:96] offset0:78 offset1:91
	v_fma_f64 v[93:94], v[91:92], s[8:9], v[147:148]
	v_add_f64 v[87:88], v[93:94], v[87:88]
	v_fma_f64 v[93:94], v[91:92], s[6:7], v[149:150]
	v_add_f64 v[89:90], v[93:94], v[89:90]
	;; [unrolled: 2-line block ×10, first 2 shown]
	ds_write2_b64 v146, v[89:90], v[87:88] offset0:104 offset1:117
	v_fma_f64 v[87:88], v[91:92], s[18:19], v[103:104]
	v_add_f64 v[81:82], v[87:88], v[81:82]
	v_fma_f64 v[87:88], v[91:92], s[4:5], v[105:106]
	v_add_f64 v[83:84], v[87:88], v[83:84]
	;; [unrolled: 2-line block ×10, first 2 shown]
	ds_write2_b64 v146, v[83:84], v[81:82] offset0:130 offset1:143
	v_mul_f64 v[81:82], v[97:98], s[36:37]
	v_fma_f64 v[83:84], v[91:92], s[24:25], -v[81:82]
	v_add_f64 v[75:76], v[83:84], v[75:76]
	v_mul_f64 v[83:84], v[109:110], s[14:15]
	v_fma_f64 v[87:88], v[107:108], s[6:7], -v[83:84]
	v_fma_f64 v[36:37], v[107:108], s[6:7], v[83:84]
	v_add_f64 v[75:76], v[87:88], v[75:76]
	v_mul_f64 v[87:88], v[117:118], s[34:35]
	v_fma_f64 v[89:90], v[115:116], s[18:19], -v[87:88]
	v_fma_f64 v[38:39], v[115:116], s[18:19], v[87:88]
	;; [unrolled: 4-line block ×4, first 2 shown]
	v_add_f64 v[75:76], v[95:96], v[75:76]
	ds_write2_b64 v146, v[48:49], v[75:76] offset1:13
	v_fma_f64 v[48:49], v[91:92], s[24:25], v[81:82]
	v_add_f64 v[44:45], v[48:49], v[69:70]
	v_add_f64 v[48:49], v[85:86], v[24:25]
	;; [unrolled: 1-line block ×3, first 2 shown]
	v_mul_f64 v[69:70], v[26:27], s[36:37]
	v_add_f64 v[36:37], v[36:37], v[44:45]
	v_add_f64 v[44:45], v[48:49], v[22:23]
	;; [unrolled: 1-line block ×3, first 2 shown]
	v_fma_f64 v[75:76], v[24:25], s[24:25], v[69:70]
	v_mul_f64 v[48:49], v[28:29], s[14:15]
	v_add_f64 v[36:37], v[38:39], v[36:37]
	v_add_f64 v[44:45], v[44:45], v[20:21]
	;; [unrolled: 1-line block ×4, first 2 shown]
	v_fma_f64 v[79:80], v[24:25], s[18:19], v[77:78]
	v_mul_f64 v[38:39], v[30:31], s[34:35]
	v_add_f64 v[44:45], v[44:45], v[16:17]
	v_add_f64 v[16:17], v[16:17], v[12:13]
	;; [unrolled: 1-line block ×3, first 2 shown]
	v_mul_f64 v[79:80], v[26:27], s[38:39]
	v_add_f64 v[44:45], v[44:45], v[18:19]
	v_add_f64 v[18:19], v[18:19], v[14:15]
	v_fma_f64 v[81:82], v[24:25], s[4:5], v[79:80]
	v_add_f64 v[14:15], v[44:45], v[14:15]
	v_fma_f64 v[44:45], v[20:21], s[18:19], v[38:39]
	v_add_f64 v[71:72], v[81:82], v[71:72]
	v_mul_f64 v[81:82], v[26:27], s[22:23]
	v_add_f64 v[12:13], v[14:15], v[12:13]
	v_add_f64 v[14:15], v[40:41], v[36:37]
	v_mul_f64 v[36:37], v[32:33], s[30:31]
	v_fma_f64 v[83:84], v[24:25], s[8:9], v[81:82]
	v_add_f64 v[8:9], v[12:13], v[8:9]
	v_add_f64 v[14:15], v[42:43], v[14:15]
	v_fma_f64 v[40:41], v[16:17], s[8:9], v[36:37]
	v_mul_f64 v[12:13], v[32:33], s[16:17]
	v_add_f64 v[67:68], v[83:84], v[67:68]
	v_mul_f64 v[83:84], v[26:27], s[26:27]
	v_mul_f64 v[26:27], v[26:27], s[40:41]
	v_add_f64 v[8:9], v[8:9], v[10:11]
	v_mul_f64 v[10:11], v[32:33], s[40:41]
	ds_write_b64 v146, v[14:15] offset:1248
	s_waitcnt lgkmcnt(0)
	s_barrier
	buffer_gl0_inv
	v_fma_f64 v[85:86], v[24:25], s[6:7], v[83:84]
	v_fma_f64 v[42:43], v[24:25], s[6:7], -v[83:84]
	v_add_f64 v[6:7], v[8:9], v[6:7]
	v_mul_f64 v[8:9], v[28:29], s[30:31]
	v_add_f64 v[65:66], v[85:86], v[65:66]
	v_fma_f64 v[85:86], v[24:25], s[0:1], v[26:27]
	v_fma_f64 v[26:27], v[24:25], s[0:1], -v[26:27]
	v_add_f64 v[61:62], v[85:86], v[61:62]
	v_add_f64 v[26:27], v[26:27], v[63:64]
	v_fma_f64 v[63:64], v[22:23], s[6:7], v[48:49]
	v_add_f64 v[63:64], v[63:64], v[75:76]
	v_mul_f64 v[75:76], v[28:29], s[38:39]
	v_add_f64 v[44:45], v[44:45], v[63:64]
	v_fma_f64 v[85:86], v[22:23], s[4:5], v[75:76]
	v_mul_f64 v[63:64], v[30:31], s[22:23]
	v_add_f64 v[40:41], v[40:41], v[44:45]
	v_add_f64 v[73:74], v[85:86], v[73:74]
	v_mul_f64 v[85:86], v[28:29], s[20:21]
	v_mul_f64 v[44:45], v[32:33], s[26:27]
	v_fma_f64 v[87:88], v[22:23], s[18:19], v[85:86]
	v_add_f64 v[71:72], v[87:88], v[71:72]
	v_mul_f64 v[87:88], v[28:29], s[40:41]
	v_fma_f64 v[89:90], v[22:23], s[0:1], v[87:88]
	v_add_f64 v[67:68], v[89:90], v[67:68]
	v_mul_f64 v[89:90], v[28:29], s[36:37]
	v_fma_f64 v[28:29], v[22:23], s[8:9], v[8:9]
	v_fma_f64 v[8:9], v[22:23], s[8:9], -v[8:9]
	v_fma_f64 v[91:92], v[22:23], s[24:25], v[89:90]
	v_add_f64 v[28:29], v[28:29], v[61:62]
	v_add_f64 v[8:9], v[8:9], v[26:27]
	v_mul_f64 v[26:27], v[30:31], s[28:29]
	v_fma_f64 v[61:62], v[24:25], s[18:19], -v[77:78]
	v_fma_f64 v[77:78], v[24:25], s[4:5], -v[79:80]
	v_add_f64 v[65:66], v[91:92], v[65:66]
	v_fma_f64 v[91:92], v[20:21], s[8:9], v[63:64]
	v_add_f64 v[2:3], v[61:62], v[2:3]
	v_add_f64 v[73:74], v[91:92], v[73:74]
	v_mul_f64 v[91:92], v[30:31], s[40:41]
	v_fma_f64 v[93:94], v[20:21], s[0:1], v[91:92]
	v_add_f64 v[71:72], v[93:94], v[71:72]
	v_mul_f64 v[93:94], v[30:31], s[14:15]
	v_fma_f64 v[95:96], v[20:21], s[6:7], v[93:94]
	;; [unrolled: 3-line block ×3, first 2 shown]
	v_fma_f64 v[26:27], v[20:21], s[24:25], -v[26:27]
	v_fma_f64 v[97:98], v[20:21], s[4:5], v[95:96]
	v_add_f64 v[28:29], v[30:31], v[28:29]
	v_fma_f64 v[30:31], v[24:25], s[8:9], -v[81:82]
	v_fma_f64 v[24:25], v[24:25], s[24:25], -v[69:70]
	v_add_f64 v[8:9], v[26:27], v[8:9]
	v_add_f64 v[65:66], v[97:98], v[65:66]
	v_fma_f64 v[97:98], v[16:17], s[6:7], v[44:45]
	v_add_f64 v[26:27], v[30:31], v[50:51]
	v_add_f64 v[30:31], v[42:43], v[59:60]
	;; [unrolled: 1-line block ×4, first 2 shown]
	v_fma_f64 v[24:25], v[22:23], s[0:1], -v[87:88]
	v_fma_f64 v[46:47], v[22:23], s[24:25], -v[89:90]
	;; [unrolled: 1-line block ×5, first 2 shown]
	v_add_f64 v[73:74], v[97:98], v[73:74]
	v_mul_f64 v[97:98], v[32:33], s[36:37]
	v_mul_f64 v[32:33], v[32:33], s[34:35]
	v_add_f64 v[24:25], v[24:25], v[26:27]
	v_add_f64 v[26:27], v[46:47], v[30:31]
	;; [unrolled: 1-line block ×5, first 2 shown]
	v_fma_f64 v[22:23], v[20:21], s[6:7], -v[93:94]
	v_fma_f64 v[42:43], v[20:21], s[4:5], -v[95:96]
	;; [unrolled: 1-line block ×3, first 2 shown]
	ds_read_b64 v[59:60], v140 offset:16224
	v_fma_f64 v[99:100], v[16:17], s[24:25], v[97:98]
	v_fma_f64 v[48:49], v[16:17], s[18:19], v[32:33]
	v_fma_f64 v[32:33], v[16:17], s[18:19], -v[32:33]
	v_add_f64 v[22:23], v[22:23], v[24:25]
	v_add_f64 v[24:25], v[42:43], v[26:27]
	;; [unrolled: 1-line block ×4, first 2 shown]
	v_fma_f64 v[99:100], v[16:17], s[4:5], v[12:13]
	v_add_f64 v[28:29], v[48:49], v[28:29]
	v_fma_f64 v[48:49], v[20:21], s[0:1], -v[91:92]
	v_fma_f64 v[20:21], v[20:21], s[18:19], -v[38:39]
	;; [unrolled: 1-line block ×3, first 2 shown]
	v_add_f64 v[8:9], v[32:33], v[8:9]
	v_fma_f64 v[32:33], v[16:17], s[6:7], -v[44:45]
	v_fma_f64 v[38:39], v[16:17], s[24:25], -v[97:98]
	v_add_f64 v[67:68], v[99:100], v[67:68]
	v_fma_f64 v[99:100], v[16:17], s[0:1], v[10:11]
	v_fma_f64 v[10:11], v[16:17], s[0:1], -v[10:11]
	v_add_f64 v[26:27], v[48:49], v[30:31]
	v_mul_f64 v[30:31], v[34:35], s[28:29]
	v_add_f64 v[0:1], v[20:21], v[0:1]
	v_mul_f64 v[20:21], v[34:35], s[34:35]
	v_fma_f64 v[16:17], v[16:17], s[8:9], -v[36:37]
	v_mul_f64 v[36:37], v[34:35], s[26:27]
	v_add_f64 v[12:13], v[12:13], v[22:23]
	v_mul_f64 v[22:23], v[34:35], s[40:41]
	v_add_f64 v[2:3], v[32:33], v[2:3]
	v_add_f64 v[65:66], v[99:100], v[65:66]
	;; [unrolled: 1-line block ×3, first 2 shown]
	v_mul_f64 v[24:25], v[34:35], s[30:31]
	v_mul_f64 v[34:35], v[34:35], s[38:39]
	v_fma_f64 v[32:33], v[18:19], s[24:25], v[30:31]
	v_add_f64 v[26:27], v[38:39], v[26:27]
	v_fma_f64 v[38:39], v[18:19], s[18:19], v[20:21]
	v_add_f64 v[0:1], v[16:17], v[0:1]
	v_fma_f64 v[16:17], v[18:19], s[6:7], v[36:37]
	v_fma_f64 v[36:37], v[18:19], s[6:7], -v[36:37]
	v_fma_f64 v[30:31], v[18:19], s[24:25], -v[30:31]
	;; [unrolled: 1-line block ×3, first 2 shown]
	v_fma_f64 v[42:43], v[18:19], s[0:1], v[22:23]
	v_fma_f64 v[22:23], v[18:19], s[0:1], -v[22:23]
	v_fma_f64 v[44:45], v[18:19], s[8:9], v[24:25]
	v_fma_f64 v[24:25], v[18:19], s[8:9], -v[24:25]
	v_fma_f64 v[46:47], v[18:19], s[4:5], v[34:35]
	v_fma_f64 v[18:19], v[18:19], s[4:5], -v[34:35]
	v_add_f64 v[32:33], v[32:33], v[67:68]
	v_add_f64 v[38:39], v[38:39], v[65:66]
	;; [unrolled: 1-line block ×13, first 2 shown]
	ds_read2_b64 v[0:3], v140 offset1:169
	ds_read2_b64 v[8:11], v141 offset0:82 offset1:251
	ds_read2_b64 v[16:19], v142 offset0:36 offset1:205
	;; [unrolled: 1-line block ×5, first 2 shown]
	s_waitcnt lgkmcnt(0)
	s_barrier
	buffer_gl0_inv
	ds_write2_b64 v146, v[40:41], v[34:35] offset1:13
	ds_write2_b64 v146, v[42:43], v[44:45] offset0:26 offset1:39
	ds_write2_b64 v146, v[32:33], v[38:39] offset0:52 offset1:65
	;; [unrolled: 1-line block ×5, first 2 shown]
	ds_write_b64 v146, v[26:27] offset:1248
	s_waitcnt lgkmcnt(0)
	s_barrier
	buffer_gl0_inv
	s_and_saveexec_b32 s33, vcc_lo
	s_cbranch_execz .LBB0_15
; %bb.14:
	v_mul_u32_u24_e32 v24, 12, v58
	v_lshlrev_b64 v[52:53], 4, v[52:53]
	v_lshlrev_b32_e32 v24, 4, v24
	v_add_co_u32 v61, s12, s12, v24
	v_add_co_ci_u32_e64 v62, null, s13, 0, s12
	v_mul_i32_i24_e32 v24, 0xffffffa0, v58
	v_add_co_u32 v46, vcc_lo, 0xa00, v61
	v_add_co_ci_u32_e32 v47, vcc_lo, 0, v62, vcc_lo
	v_add_co_u32 v48, vcc_lo, 0x800, v61
	v_add_co_ci_u32_e32 v49, vcc_lo, 0, v62, vcc_lo
	s_clause 0x1
	global_load_dwordx4 v[26:29], v[46:47], off offset:16
	global_load_dwordx4 v[30:33], v[46:47], off offset:32
	v_add_nc_u32_e32 v75, v139, v24
	v_add_co_u32 v50, vcc_lo, 0x9c0, v61
	s_clause 0x1
	global_load_dwordx4 v[34:37], v[48:49], off offset:512
	global_load_dwordx4 v[42:45], v[48:49], off offset:576
	v_add_nc_u32_e32 v24, 0x1e00, v75
	v_add_co_ci_u32_e32 v51, vcc_lo, 0, v62, vcc_lo
	v_add_co_u32 v73, vcc_lo, 0xa40, v61
	ds_read2_b64 v[38:41], v24 offset0:54 offset1:223
	v_add_co_ci_u32_e32 v74, vcc_lo, 0, v62, vcc_lo
	s_waitcnt vmcnt(3)
	v_mul_f64 v[24:25], v[20:21], v[28:29]
	s_waitcnt lgkmcnt(0)
	v_mul_f64 v[28:29], v[38:39], v[28:29]
	v_fma_f64 v[24:25], v[38:39], v[26:27], v[24:25]
	v_fma_f64 v[26:27], v[20:21], v[26:27], -v[28:29]
	s_waitcnt vmcnt(2)
	v_mul_f64 v[20:21], v[22:23], v[32:33]
	v_add_nc_u32_e32 v38, 0x1400, v75
	v_mul_f64 v[28:29], v[40:41], v[32:33]
	v_fma_f64 v[20:21], v[40:41], v[30:31], v[20:21]
	ds_read2_b64 v[38:41], v38 offset0:36 offset1:205
	v_fma_f64 v[22:23], v[22:23], v[30:31], -v[28:29]
	s_waitcnt vmcnt(1)
	v_mul_f64 v[28:29], v[18:19], v[36:37]
	s_waitcnt lgkmcnt(0)
	v_mul_f64 v[30:31], v[40:41], v[36:37]
	v_add_f64 v[118:119], v[24:25], v[20:21]
	v_add_f64 v[120:121], v[24:25], -v[20:21]
	v_fma_f64 v[28:29], v[40:41], v[34:35], v[28:29]
	v_fma_f64 v[18:19], v[18:19], v[34:35], -v[30:31]
	s_clause 0x1
	global_load_dwordx4 v[32:35], v[50:51], off offset:48
	global_load_dwordx4 v[61:64], v[73:74], off offset:16
	v_mul_f64 v[86:87], v[118:119], s[4:5]
	v_mul_f64 v[194:195], v[118:119], s[8:9]
	;; [unrolled: 1-line block ×7, first 2 shown]
	global_load_dwordx4 v[65:68], v[48:49], off offset:448
	s_waitcnt vmcnt(2)
	v_mul_f64 v[30:31], v[16:17], v[34:35]
	v_mul_f64 v[34:35], v[38:39], v[34:35]
	v_fma_f64 v[30:31], v[38:39], v[32:33], v[30:31]
	v_fma_f64 v[16:17], v[16:17], v[32:33], -v[34:35]
	global_load_dwordx4 v[32:35], v[46:47], off offset:48
	v_add_nc_u32_e32 v38, 0x2800, v75
	v_add_nc_u32_e32 v46, 0x800, v75
	ds_read2_b64 v[38:41], v38 offset0:72 offset1:241
	s_waitcnt vmcnt(0)
	v_mul_f64 v[36:37], v[12:13], v[34:35]
	s_waitcnt lgkmcnt(0)
	v_mul_f64 v[34:35], v[38:39], v[34:35]
	v_fma_f64 v[36:37], v[38:39], v[32:33], v[36:37]
	v_fma_f64 v[38:39], v[12:13], v[32:33], -v[34:35]
	v_mul_f64 v[12:13], v[14:15], v[44:45]
	v_mul_f64 v[32:33], v[40:41], v[44:45]
	v_add_f64 v[114:115], v[28:29], v[36:37]
	v_add_f64 v[116:117], v[28:29], -v[36:37]
	v_fma_f64 v[12:13], v[40:41], v[42:43], v[12:13]
	v_fma_f64 v[14:15], v[14:15], v[42:43], -v[32:33]
	s_clause 0x1
	global_load_dwordx4 v[32:35], v[50:51], off offset:32
	global_load_dwordx4 v[40:43], v[50:51], off offset:16
	ds_read2_b64 v[69:72], v46 offset0:82 offset1:251
	v_mul_f64 v[88:89], v[114:115], s[8:9]
	v_mul_f64 v[96:97], v[116:117], s[30:31]
	v_add_f64 v[110:111], v[30:31], v[12:13]
	v_add_f64 v[112:113], v[30:31], -v[12:13]
	v_add_f64 v[82:83], v[16:17], v[14:15]
	v_mul_f64 v[190:191], v[114:115], s[24:25]
	v_mul_f64 v[192:193], v[116:117], s[36:37]
	;; [unrolled: 1-line block ×11, first 2 shown]
	s_waitcnt vmcnt(1)
	v_mul_f64 v[44:45], v[10:11], v[34:35]
	s_waitcnt lgkmcnt(0)
	v_mul_f64 v[34:35], v[71:72], v[34:35]
	v_fma_f64 v[44:45], v[71:72], v[32:33], v[44:45]
	v_fma_f64 v[46:47], v[10:11], v[32:33], -v[34:35]
	s_waitcnt vmcnt(0)
	v_mul_f64 v[10:11], v[8:9], v[42:43]
	v_mul_f64 v[32:33], v[4:5], v[63:64]
	v_fma_f64 v[48:49], v[69:70], v[40:41], v[10:11]
	v_mul_f64 v[10:11], v[69:70], v[42:43]
	v_fma_f64 v[50:51], v[8:9], v[40:41], -v[10:11]
	v_add_nc_u32_e32 v8, 0x3400, v75
	ds_read2_b64 v[8:11], v8 offset0:26 offset1:195
	s_waitcnt lgkmcnt(0)
	v_fma_f64 v[40:41], v[8:9], v[61:62], v[32:33]
	v_mul_f64 v[8:9], v[8:9], v[63:64]
	v_add_f64 v[106:107], v[44:45], v[40:41]
	v_fma_f64 v[42:43], v[4:5], v[61:62], -v[8:9]
	s_clause 0x1
	global_load_dwordx4 v[61:64], v[73:74], off offset:32
	global_load_dwordx4 v[69:72], v[73:74], off offset:48
	v_add_f64 v[108:109], v[44:45], -v[40:41]
	v_mul_f64 v[92:93], v[106:107], s[6:7]
	v_add_f64 v[84:85], v[46:47], v[42:43]
	v_mul_f64 v[142:143], v[106:107], s[4:5]
	v_mul_f64 v[100:101], v[108:109], s[14:15]
	;; [unrolled: 1-line block ×6, first 2 shown]
	s_waitcnt vmcnt(1)
	v_mul_f64 v[4:5], v[6:7], v[63:64]
	v_fma_f64 v[32:33], v[10:11], v[61:62], v[4:5]
	v_mul_f64 v[4:5], v[10:11], v[63:64]
	v_add_f64 v[102:103], v[48:49], v[32:33]
	v_fma_f64 v[34:35], v[6:7], v[61:62], -v[4:5]
	s_waitcnt vmcnt(0)
	v_mul_f64 v[4:5], v[59:60], v[71:72]
	ds_read_b64 v[6:7], v75 offset:16224
	v_add_f64 v[104:105], v[48:49], -v[32:33]
	v_mul_f64 v[138:139], v[102:103], s[18:19]
	v_mul_f64 v[178:179], v[102:103], s[4:5]
	s_waitcnt lgkmcnt(0)
	v_fma_f64 v[8:9], v[6:7], v[69:70], v[4:5]
	v_mul_f64 v[4:5], v[6:7], v[71:72]
	v_mul_f64 v[76:77], v[104:105], s[36:37]
	v_mul_f64 v[144:145], v[104:105], s[34:35]
	v_mul_f64 v[180:181], v[104:105], s[38:39]
	v_mul_f64 v[198:199], v[102:103], s[8:9]
	v_mul_f64 v[214:215], v[102:103], s[6:7]
	v_fma_f64 v[10:11], v[59:60], v[69:70], -v[4:5]
	v_mul_f64 v[58:59], v[2:3], v[67:68]
	ds_read2_b64 v[4:7], v75 offset1:169
	v_add_f64 v[74:75], v[46:47], -v[42:43]
	s_waitcnt lgkmcnt(0)
	v_fma_f64 v[58:59], v[6:7], v[65:66], v[58:59]
	v_mul_f64 v[6:7], v[6:7], v[67:68]
	v_add_f64 v[60:61], v[58:59], v[8:9]
	v_fma_f64 v[2:3], v[2:3], v[65:66], -v[6:7]
	v_mul_f64 v[64:65], v[102:103], s[24:25]
	v_add_f64 v[128:129], v[58:59], -v[8:9]
	v_mul_f64 v[122:123], v[60:61], s[0:1]
	v_add_f64 v[6:7], v[2:3], -v[10:11]
	v_add_f64 v[124:125], v[2:3], v[10:11]
	v_mul_f64 v[126:127], v[128:129], s[2:3]
	v_mul_f64 v[150:151], v[60:61], s[24:25]
	;; [unrolled: 1-line block ×3, first 2 shown]
	v_fma_f64 v[62:63], v[6:7], s[2:3], v[122:123]
	v_add_f64 v[66:67], v[4:5], v[62:63]
	v_add_f64 v[62:63], v[50:51], -v[34:35]
	v_fma_f64 v[68:69], v[62:63], s[36:37], v[64:65]
	v_add_f64 v[68:69], v[68:69], v[66:67]
	v_fma_f64 v[66:67], v[124:125], s[0:1], -v[126:127]
	v_add_f64 v[70:71], v[0:1], v[66:67]
	v_add_f64 v[66:67], v[50:51], v[34:35]
	v_fma_f64 v[72:73], v[66:67], s[24:25], -v[76:77]
	v_add_f64 v[70:71], v[72:73], v[70:71]
	v_fma_f64 v[72:73], v[74:75], s[14:15], v[92:93]
	v_add_f64 v[68:69], v[72:73], v[68:69]
	v_fma_f64 v[72:73], v[84:85], s[6:7], -v[100:101]
	v_add_f64 v[70:71], v[72:73], v[70:71]
	v_add_f64 v[72:73], v[16:17], -v[14:15]
	v_fma_f64 v[78:79], v[72:73], s[34:35], v[90:91]
	v_add_f64 v[68:69], v[78:79], v[68:69]
	v_fma_f64 v[78:79], v[82:83], s[18:19], -v[98:99]
	v_add_f64 v[78:79], v[78:79], v[70:71]
	v_add_f64 v[70:71], v[18:19], -v[38:39]
	v_fma_f64 v[80:81], v[70:71], s[30:31], v[88:89]
	v_add_f64 v[94:95], v[80:81], v[68:69]
	v_add_f64 v[80:81], v[18:19], v[38:39]
	v_fma_f64 v[68:69], v[80:81], s[8:9], -v[96:97]
	v_add_f64 v[130:131], v[68:69], v[78:79]
	v_add_f64 v[68:69], v[26:27], -v[22:23]
	v_fma_f64 v[78:79], v[68:69], s[38:39], v[86:87]
	v_add_f64 v[132:133], v[78:79], v[94:95]
	v_add_f64 v[78:79], v[26:27], v[22:23]
	v_mul_f64 v[94:95], v[120:121], s[38:39]
	v_fma_f64 v[134:135], v[78:79], s[4:5], -v[94:95]
	v_add_f64 v[130:131], v[134:135], v[130:131]
	v_mul_lo_u32 v134, s43, v54
	v_mul_lo_u32 v135, s42, v55
	v_mad_u64_u32 v[54:55], null, s42, v54, 0
	v_add3_u32 v55, v55, v135, v134
	v_mul_f64 v[134:135], v[112:113], s[22:23]
	v_lshlrev_b64 v[54:55], 4, v[54:55]
	v_add_co_u32 v54, vcc_lo, s10, v54
	v_add_co_ci_u32_e32 v55, vcc_lo, s11, v55, vcc_lo
	v_add_co_u32 v54, vcc_lo, v54, v52
	v_add_co_ci_u32_e32 v55, vcc_lo, v55, v53, vcc_lo
	v_lshlrev_b64 v[52:53], 4, v[56:57]
	v_fma_f64 v[56:57], v[62:63], s[34:35], v[138:139]
	v_add_co_u32 v52, vcc_lo, v54, v52
	v_add_co_ci_u32_e32 v53, vcc_lo, v55, v53, vcc_lo
	v_add_co_u32 v54, vcc_lo, 0x800, v52
	v_add_co_ci_u32_e32 v55, vcc_lo, 0, v53, vcc_lo
	global_store_dwordx4 v[54:55], v[130:133], off offset:656
	v_fma_f64 v[54:55], v[6:7], s[36:37], v[150:151]
	v_fma_f64 v[130:131], v[66:67], s[18:19], -v[144:145]
	v_mul_f64 v[132:133], v[114:115], s[6:7]
	v_fma_f64 v[150:151], v[6:7], s[28:29], v[150:151]
	v_add_f64 v[54:55], v[4:5], v[54:55]
	v_add_f64 v[150:151], v[4:5], v[150:151]
	;; [unrolled: 1-line block ×3, first 2 shown]
	v_fma_f64 v[56:57], v[124:125], s[24:25], -v[152:153]
	v_fma_f64 v[152:153], v[124:125], s[24:25], v[152:153]
	v_add_f64 v[56:57], v[0:1], v[56:57]
	v_add_f64 v[152:153], v[0:1], v[152:153]
	;; [unrolled: 1-line block ×3, first 2 shown]
	v_fma_f64 v[130:131], v[74:75], s[38:39], v[142:143]
	v_add_f64 v[54:55], v[130:131], v[54:55]
	v_fma_f64 v[130:131], v[84:85], s[4:5], -v[140:141]
	v_add_f64 v[56:57], v[130:131], v[56:57]
	v_fma_f64 v[130:131], v[72:73], s[22:23], v[136:137]
	v_add_f64 v[54:55], v[130:131], v[54:55]
	v_fma_f64 v[130:131], v[82:83], s[8:9], -v[134:135]
	v_add_f64 v[56:57], v[130:131], v[56:57]
	v_fma_f64 v[130:131], v[70:71], s[26:27], v[132:133]
	v_add_f64 v[54:55], v[130:131], v[54:55]
	v_mul_f64 v[130:131], v[116:117], s[26:27]
	v_fma_f64 v[146:147], v[80:81], s[6:7], -v[130:131]
	v_add_f64 v[146:147], v[146:147], v[56:57]
	v_mul_f64 v[56:57], v[118:119], s[0:1]
	v_mul_f64 v[118:119], v[118:119], s[6:7]
	v_fma_f64 v[148:149], v[68:69], s[40:41], v[56:57]
	v_add_f64 v[148:149], v[148:149], v[54:55]
	v_mul_f64 v[54:55], v[120:121], s[40:41]
	v_mul_f64 v[120:121], v[120:121], s[26:27]
	v_fma_f64 v[154:155], v[78:79], s[0:1], -v[54:55]
	v_add_f64 v[146:147], v[154:155], v[146:147]
	v_add_co_u32 v154, vcc_lo, 0x1000, v52
	v_add_co_ci_u32_e32 v155, vcc_lo, 0, v53, vcc_lo
	global_store_dwordx4 v[154:155], v[146:149], off offset:1312
	v_mul_f64 v[146:147], v[60:61], s[4:5]
	v_mul_f64 v[148:149], v[60:61], s[8:9]
	;; [unrolled: 1-line block ×4, first 2 shown]
	v_fma_f64 v[156:157], v[6:7], s[38:39], v[146:147]
	v_fma_f64 v[146:147], v[6:7], s[16:17], v[146:147]
	;; [unrolled: 1-line block ×9, first 2 shown]
	v_add_f64 v[122:123], v[4:5], v[58:59]
	v_add_f64 v[156:157], v[4:5], v[156:157]
	;; [unrolled: 1-line block ×10, first 2 shown]
	v_mul_f64 v[4:5], v[128:129], s[38:39]
	v_mul_f64 v[6:7], v[128:129], s[30:31]
	;; [unrolled: 1-line block ×4, first 2 shown]
	v_add_f64 v[48:49], v[48:49], v[122:123]
	v_fma_f64 v[166:167], v[124:125], s[4:5], -v[4:5]
	v_fma_f64 v[4:5], v[124:125], s[4:5], v[4:5]
	v_fma_f64 v[168:169], v[124:125], s[8:9], -v[6:7]
	v_fma_f64 v[6:7], v[124:125], s[8:9], v[6:7]
	;; [unrolled: 2-line block ×4, first 2 shown]
	v_fma_f64 v[124:125], v[124:125], s[0:1], v[126:127]
	v_add_f64 v[126:127], v[0:1], v[2:3]
	v_add_f64 v[44:45], v[44:45], v[48:49]
	;; [unrolled: 1-line block ×11, first 2 shown]
	v_fma_f64 v[0:1], v[62:63], s[38:39], v[178:179]
	v_fma_f64 v[4:5], v[66:67], s[4:5], -v[180:181]
	v_add_f64 v[50:51], v[50:51], v[126:127]
	v_add_f64 v[30:31], v[30:31], v[44:45]
	v_fma_f64 v[44:45], v[84:85], s[4:5], v[140:141]
	v_add_f64 v[0:1], v[0:1], v[58:59]
	v_add_f64 v[2:3], v[4:5], v[2:3]
	v_fma_f64 v[4:5], v[74:75], s[20:21], v[182:183]
	;; [unrolled: 3-line block ×3, first 2 shown]
	v_add_f64 v[0:1], v[4:5], v[0:1]
	v_fma_f64 v[4:5], v[84:85], s[18:19], -v[184:185]
	v_add_f64 v[16:17], v[16:17], v[46:47]
	v_fma_f64 v[46:47], v[84:85], s[6:7], v[100:101]
	v_add_f64 v[30:31], v[30:31], v[124:125]
	v_add_f64 v[2:3], v[4:5], v[2:3]
	v_fma_f64 v[4:5], v[72:73], s[40:41], v[186:187]
	v_add_f64 v[16:17], v[18:19], v[16:17]
	v_add_f64 v[18:19], v[24:25], v[28:29]
	v_fma_f64 v[24:25], v[62:63], s[20:21], v[138:139]
	v_fma_f64 v[28:29], v[66:67], s[18:19], v[144:145]
	v_add_f64 v[0:1], v[4:5], v[0:1]
	v_fma_f64 v[4:5], v[82:83], s[0:1], -v[188:189]
	v_add_f64 v[16:17], v[26:27], v[16:17]
	v_fma_f64 v[26:27], v[62:63], s[28:29], v[64:65]
	v_add_f64 v[18:19], v[20:21], v[18:19]
	v_fma_f64 v[20:21], v[74:75], s[16:17], v[142:143]
	v_add_f64 v[24:25], v[24:25], v[150:151]
	v_add_f64 v[28:29], v[28:29], v[152:153]
	;; [unrolled: 1-line block ×3, first 2 shown]
	v_fma_f64 v[4:5], v[70:71], s[36:37], v[190:191]
	v_add_f64 v[16:17], v[22:23], v[16:17]
	v_fma_f64 v[22:23], v[74:75], s[26:27], v[92:93]
	v_add_f64 v[26:27], v[26:27], v[164:165]
	v_add_f64 v[18:19], v[36:37], v[18:19]
	v_fma_f64 v[36:37], v[72:73], s[30:31], v[136:137]
	v_add_f64 v[20:21], v[20:21], v[24:25]
	v_add_f64 v[24:25], v[44:45], v[28:29]
	v_fma_f64 v[28:29], v[82:83], s[8:9], v[134:135]
	v_fma_f64 v[44:45], v[82:83], s[18:19], v[98:99]
	v_add_f64 v[0:1], v[4:5], v[0:1]
	v_fma_f64 v[4:5], v[80:81], s[24:25], -v[192:193]
	v_add_f64 v[16:17], v[38:39], v[16:17]
	v_fma_f64 v[38:39], v[72:73], s[20:21], v[90:91]
	v_add_f64 v[22:23], v[22:23], v[26:27]
	v_add_f64 v[26:27], v[46:47], v[30:31]
	;; [unrolled: 1-line block ×5, first 2 shown]
	v_fma_f64 v[28:29], v[80:81], s[6:7], v[130:131]
	v_fma_f64 v[18:19], v[70:71], s[22:23], v[88:89]
	;; [unrolled: 1-line block ×4, first 2 shown]
	v_add_f64 v[4:5], v[4:5], v[2:3]
	v_fma_f64 v[2:3], v[68:69], s[30:31], v[194:195]
	v_add_f64 v[14:15], v[14:15], v[16:17]
	v_fma_f64 v[16:17], v[70:71], s[14:15], v[132:133]
	v_add_f64 v[22:23], v[38:39], v[22:23]
	v_add_f64 v[26:27], v[44:45], v[26:27]
	;; [unrolled: 1-line block ×3, first 2 shown]
	v_fma_f64 v[38:39], v[68:69], s[16:17], v[86:87]
	v_add_f64 v[2:3], v[2:3], v[0:1]
	v_fma_f64 v[0:1], v[78:79], s[8:9], -v[196:197]
	v_add_f64 v[14:15], v[42:43], v[14:15]
	v_add_f64 v[16:17], v[16:17], v[20:21]
	;; [unrolled: 1-line block ×3, first 2 shown]
	v_fma_f64 v[24:25], v[78:79], s[0:1], v[54:55]
	v_fma_f64 v[28:29], v[78:79], s[4:5], v[94:95]
	v_add_f64 v[18:19], v[18:19], v[22:23]
	v_add_f64 v[22:23], v[30:31], v[26:27]
	;; [unrolled: 1-line block ×3, first 2 shown]
	v_add_co_u32 v32, vcc_lo, 0x1800, v52
	v_add_co_ci_u32_e32 v33, vcc_lo, 0, v53, vcc_lo
	v_add_f64 v[0:1], v[0:1], v[4:5]
	v_fma_f64 v[4:5], v[62:63], s[22:23], v[198:199]
	v_add_f64 v[30:31], v[34:35], v[14:15]
	v_add_f64 v[14:15], v[36:37], v[16:17]
	;; [unrolled: 1-line block ×3, first 2 shown]
	v_add_co_u32 v24, vcc_lo, 0x2800, v52
	v_add_co_ci_u32_e32 v25, vcc_lo, 0, v53, vcc_lo
	v_add_co_u32 v34, vcc_lo, 0x3000, v52
	v_add_co_ci_u32_e32 v35, vcc_lo, 0, v53, vcc_lo
	v_add_f64 v[16:17], v[28:29], v[22:23]
	v_add_co_u32 v28, vcc_lo, 0x3800, v52
	v_add_co_ci_u32_e32 v29, vcc_lo, 0, v53, vcc_lo
	v_add_co_u32 v36, vcc_lo, 0x4800, v52
	v_add_co_ci_u32_e32 v37, vcc_lo, 0, v53, vcc_lo
	v_add_f64 v[22:23], v[8:9], v[26:27]
	v_add_f64 v[4:5], v[4:5], v[160:161]
	v_mul_f64 v[160:161], v[104:105], s[22:23]
	v_add_f64 v[20:21], v[10:11], v[30:31]
	v_add_co_u32 v8, vcc_lo, 0x5000, v52
	v_add_f64 v[18:19], v[38:39], v[18:19]
	v_add_co_ci_u32_e32 v9, vcc_lo, 0, v53, vcc_lo
	v_add_co_u32 v10, vcc_lo, 0x5800, v52
	v_add_co_ci_u32_e32 v11, vcc_lo, 0, v53, vcc_lo
	global_store_dwordx4 v[32:33], v[0:3], off offset:1968
	v_add_co_u32 v0, vcc_lo, 0x6800, v52
	v_add_co_ci_u32_e32 v1, vcc_lo, 0, v53, vcc_lo
	v_add_co_u32 v2, vcc_lo, 0x7000, v52
	v_add_co_ci_u32_e32 v3, vcc_lo, 0, v53, vcc_lo
	v_add_co_u32 v26, vcc_lo, 0x7800, v52
	v_fma_f64 v[6:7], v[66:67], s[8:9], -v[160:161]
	v_add_co_ci_u32_e32 v27, vcc_lo, 0, v53, vcc_lo
	v_add_f64 v[6:7], v[6:7], v[170:171]
	v_mul_f64 v[170:171], v[106:107], s[0:1]
	v_fma_f64 v[58:59], v[74:75], s[40:41], v[170:171]
	v_add_f64 v[4:5], v[58:59], v[4:5]
	v_fma_f64 v[58:59], v[84:85], s[0:1], -v[200:201]
	v_add_f64 v[6:7], v[58:59], v[6:7]
	v_fma_f64 v[58:59], v[72:73], s[14:15], v[202:203]
	v_add_f64 v[4:5], v[58:59], v[4:5]
	v_fma_f64 v[58:59], v[82:83], s[6:7], -v[204:205]
	v_add_f64 v[6:7], v[58:59], v[6:7]
	;; [unrolled: 4-line block ×4, first 2 shown]
	v_fma_f64 v[58:59], v[62:63], s[26:27], v[214:215]
	v_add_f64 v[58:59], v[58:59], v[158:159]
	v_mul_f64 v[158:159], v[104:105], s[26:27]
	v_fma_f64 v[60:61], v[66:67], s[6:7], -v[158:159]
	v_add_f64 v[60:61], v[60:61], v[168:169]
	v_mul_f64 v[168:169], v[106:107], s[24:25]
	v_mul_f64 v[106:107], v[106:107], s[8:9]
	v_fma_f64 v[216:217], v[74:75], s[36:37], v[168:169]
	v_add_f64 v[58:59], v[216:217], v[58:59]
	v_mul_f64 v[216:217], v[108:109], s[36:37]
	v_mul_f64 v[108:109], v[108:109], s[30:31]
	v_fma_f64 v[218:219], v[84:85], s[24:25], -v[216:217]
	v_add_f64 v[60:61], v[218:219], v[60:61]
	v_mul_f64 v[218:219], v[110:111], s[4:5]
	v_mul_f64 v[110:111], v[110:111], s[24:25]
	v_fma_f64 v[220:221], v[72:73], s[16:17], v[218:219]
	v_add_f64 v[58:59], v[220:221], v[58:59]
	v_mul_f64 v[220:221], v[112:113], s[16:17]
	;; [unrolled: 8-line block ×3, first 2 shown]
	v_mul_f64 v[116:117], v[116:117], s[34:35]
	v_fma_f64 v[226:227], v[80:81], s[0:1], -v[224:225]
	v_add_f64 v[226:227], v[226:227], v[60:61]
	v_fma_f64 v[60:61], v[68:69], s[34:35], v[228:229]
	v_add_f64 v[60:61], v[60:61], v[58:59]
	v_fma_f64 v[58:59], v[78:79], s[18:19], -v[230:231]
	v_add_f64 v[58:59], v[58:59], v[226:227]
	v_mul_f64 v[226:227], v[102:103], s[0:1]
	v_fma_f64 v[102:103], v[62:63], s[40:41], v[226:227]
	v_add_f64 v[102:103], v[102:103], v[156:157]
	v_mul_f64 v[156:157], v[104:105], s[40:41]
	v_fma_f64 v[104:105], v[66:67], s[0:1], -v[156:157]
	v_fma_f64 v[156:157], v[66:67], s[0:1], v[156:157]
	v_add_f64 v[104:105], v[104:105], v[166:167]
	v_fma_f64 v[166:167], v[74:75], s[30:31], v[106:107]
	v_fma_f64 v[106:107], v[74:75], s[22:23], v[106:107]
	v_add_f64 v[156:157], v[156:157], v[172:173]
	v_add_f64 v[102:103], v[166:167], v[102:103]
	v_fma_f64 v[166:167], v[84:85], s[8:9], -v[108:109]
	v_fma_f64 v[108:109], v[84:85], s[8:9], v[108:109]
	v_add_f64 v[104:105], v[166:167], v[104:105]
	v_fma_f64 v[166:167], v[72:73], s[28:29], v[110:111]
	v_fma_f64 v[110:111], v[72:73], s[36:37], v[110:111]
	v_add_f64 v[108:109], v[108:109], v[156:157]
	v_add_f64 v[102:103], v[166:167], v[102:103]
	v_fma_f64 v[166:167], v[82:83], s[24:25], -v[112:113]
	v_add_f64 v[104:105], v[166:167], v[104:105]
	v_fma_f64 v[166:167], v[70:71], s[34:35], v[114:115]
	v_add_f64 v[102:103], v[166:167], v[102:103]
	v_fma_f64 v[166:167], v[80:81], s[18:19], -v[116:117]
	v_add_f64 v[166:167], v[166:167], v[104:105]
	v_fma_f64 v[104:105], v[68:69], s[26:27], v[118:119]
	;; [unrolled: 4-line block ×3, first 2 shown]
	v_add_f64 v[146:147], v[166:167], v[146:147]
	v_add_f64 v[106:107], v[106:107], v[146:147]
	v_fma_f64 v[146:147], v[78:79], s[8:9], v[196:197]
	v_add_f64 v[106:107], v[110:111], v[106:107]
	v_fma_f64 v[110:111], v[82:83], s[24:25], v[112:113]
	v_fma_f64 v[112:113], v[78:79], s[6:7], v[120:121]
	;; [unrolled: 1-line block ×3, first 2 shown]
	v_add_f64 v[108:109], v[110:111], v[108:109]
	v_fma_f64 v[110:111], v[70:71], s[20:21], v[114:115]
	v_fma_f64 v[114:115], v[74:75], s[28:29], v[168:169]
	v_add_f64 v[106:107], v[110:111], v[106:107]
	v_fma_f64 v[110:111], v[80:81], s[18:19], v[116:117]
	v_fma_f64 v[116:117], v[78:79], s[18:19], v[230:231]
	;; [unrolled: 3-line block ×3, first 2 shown]
	v_add_f64 v[108:109], v[108:109], v[106:107]
	v_add_f64 v[106:107], v[112:113], v[110:111]
	v_fma_f64 v[110:111], v[62:63], s[14:15], v[214:215]
	v_fma_f64 v[112:113], v[66:67], s[6:7], v[158:159]
	v_add_f64 v[110:111], v[110:111], v[148:149]
	v_add_f64 v[112:113], v[112:113], v[174:175]
	;; [unrolled: 1-line block ×3, first 2 shown]
	v_fma_f64 v[114:115], v[84:85], s[24:25], v[216:217]
	v_add_f64 v[112:113], v[114:115], v[112:113]
	v_fma_f64 v[114:115], v[72:73], s[38:39], v[218:219]
	v_add_f64 v[110:111], v[114:115], v[110:111]
	;; [unrolled: 2-line block ×6, first 2 shown]
	v_add_f64 v[110:111], v[116:117], v[114:115]
	v_fma_f64 v[114:115], v[62:63], s[30:31], v[198:199]
	v_fma_f64 v[116:117], v[66:67], s[8:9], v[160:161]
	v_add_f64 v[114:115], v[114:115], v[154:155]
	v_add_f64 v[116:117], v[116:117], v[176:177]
	;; [unrolled: 1-line block ×3, first 2 shown]
	v_fma_f64 v[118:119], v[84:85], s[0:1], v[200:201]
	v_add_f64 v[116:117], v[118:119], v[116:117]
	v_fma_f64 v[118:119], v[72:73], s[26:27], v[202:203]
	v_add_f64 v[114:115], v[118:119], v[114:115]
	;; [unrolled: 2-line block ×6, first 2 shown]
	v_add_f64 v[114:115], v[120:121], v[118:119]
	v_fma_f64 v[118:119], v[62:63], s[16:17], v[178:179]
	v_fma_f64 v[120:121], v[66:67], s[4:5], v[180:181]
	v_add_f64 v[118:119], v[118:119], v[162:163]
	v_add_f64 v[120:121], v[120:121], v[128:129]
	v_fma_f64 v[128:129], v[74:75], s[34:35], v[182:183]
	v_add_f64 v[118:119], v[128:129], v[118:119]
	v_fma_f64 v[128:129], v[84:85], s[18:19], v[184:185]
	;; [unrolled: 2-line block ×7, first 2 shown]
	v_add_f64 v[120:121], v[120:121], v[118:119]
	v_add_f64 v[118:119], v[146:147], v[128:129]
	global_store_dwordx4 v[24:25], v[4:7], off offset:576
	global_store_dwordx4 v[34:35], v[58:61], off offset:1232
	global_store_dwordx4 v[28:29], v[102:105], off offset:1888
	global_store_dwordx4 v[36:37], v[106:109], off offset:496
	global_store_dwordx4 v[8:9], v[110:113], off offset:1152
	global_store_dwordx4 v[10:11], v[114:117], off offset:1808
	global_store_dwordx4 v[0:1], v[118:121], off offset:416
	global_store_dwordx4 v[2:3], v[12:15], off offset:1072
	global_store_dwordx4 v[52:53], v[20:23], off
	global_store_dwordx4 v[26:27], v[16:19], off offset:1728
.LBB0_15:
	s_endpgm
	.section	.rodata,"a",@progbits
	.p2align	6, 0x0
	.amdhsa_kernel fft_rtc_fwd_len2197_factors_13_13_13_wgs_169_tpt_169_halfLds_dp_op_CI_CI_unitstride_sbrr_dirReg
		.amdhsa_group_segment_fixed_size 0
		.amdhsa_private_segment_fixed_size 0
		.amdhsa_kernarg_size 104
		.amdhsa_user_sgpr_count 6
		.amdhsa_user_sgpr_private_segment_buffer 1
		.amdhsa_user_sgpr_dispatch_ptr 0
		.amdhsa_user_sgpr_queue_ptr 0
		.amdhsa_user_sgpr_kernarg_segment_ptr 1
		.amdhsa_user_sgpr_dispatch_id 0
		.amdhsa_user_sgpr_flat_scratch_init 0
		.amdhsa_user_sgpr_private_segment_size 0
		.amdhsa_wavefront_size32 1
		.amdhsa_uses_dynamic_stack 0
		.amdhsa_system_sgpr_private_segment_wavefront_offset 0
		.amdhsa_system_sgpr_workgroup_id_x 1
		.amdhsa_system_sgpr_workgroup_id_y 0
		.amdhsa_system_sgpr_workgroup_id_z 0
		.amdhsa_system_sgpr_workgroup_info 0
		.amdhsa_system_vgpr_workitem_id 0
		.amdhsa_next_free_vgpr 232
		.amdhsa_next_free_sgpr 44
		.amdhsa_reserve_vcc 1
		.amdhsa_reserve_flat_scratch 0
		.amdhsa_float_round_mode_32 0
		.amdhsa_float_round_mode_16_64 0
		.amdhsa_float_denorm_mode_32 3
		.amdhsa_float_denorm_mode_16_64 3
		.amdhsa_dx10_clamp 1
		.amdhsa_ieee_mode 1
		.amdhsa_fp16_overflow 0
		.amdhsa_workgroup_processor_mode 1
		.amdhsa_memory_ordered 1
		.amdhsa_forward_progress 0
		.amdhsa_shared_vgpr_count 0
		.amdhsa_exception_fp_ieee_invalid_op 0
		.amdhsa_exception_fp_denorm_src 0
		.amdhsa_exception_fp_ieee_div_zero 0
		.amdhsa_exception_fp_ieee_overflow 0
		.amdhsa_exception_fp_ieee_underflow 0
		.amdhsa_exception_fp_ieee_inexact 0
		.amdhsa_exception_int_div_zero 0
	.end_amdhsa_kernel
	.text
.Lfunc_end0:
	.size	fft_rtc_fwd_len2197_factors_13_13_13_wgs_169_tpt_169_halfLds_dp_op_CI_CI_unitstride_sbrr_dirReg, .Lfunc_end0-fft_rtc_fwd_len2197_factors_13_13_13_wgs_169_tpt_169_halfLds_dp_op_CI_CI_unitstride_sbrr_dirReg
                                        ; -- End function
	.section	.AMDGPU.csdata,"",@progbits
; Kernel info:
; codeLenInByte = 14160
; NumSgprs: 46
; NumVgprs: 232
; ScratchSize: 0
; MemoryBound: 1
; FloatMode: 240
; IeeeMode: 1
; LDSByteSize: 0 bytes/workgroup (compile time only)
; SGPRBlocks: 5
; VGPRBlocks: 28
; NumSGPRsForWavesPerEU: 46
; NumVGPRsForWavesPerEU: 232
; Occupancy: 4
; WaveLimiterHint : 1
; COMPUTE_PGM_RSRC2:SCRATCH_EN: 0
; COMPUTE_PGM_RSRC2:USER_SGPR: 6
; COMPUTE_PGM_RSRC2:TRAP_HANDLER: 0
; COMPUTE_PGM_RSRC2:TGID_X_EN: 1
; COMPUTE_PGM_RSRC2:TGID_Y_EN: 0
; COMPUTE_PGM_RSRC2:TGID_Z_EN: 0
; COMPUTE_PGM_RSRC2:TIDIG_COMP_CNT: 0
	.text
	.p2alignl 6, 3214868480
	.fill 48, 4, 3214868480
	.type	__hip_cuid_ad3dfb1eb2ee914d,@object ; @__hip_cuid_ad3dfb1eb2ee914d
	.section	.bss,"aw",@nobits
	.globl	__hip_cuid_ad3dfb1eb2ee914d
__hip_cuid_ad3dfb1eb2ee914d:
	.byte	0                               ; 0x0
	.size	__hip_cuid_ad3dfb1eb2ee914d, 1

	.ident	"AMD clang version 19.0.0git (https://github.com/RadeonOpenCompute/llvm-project roc-6.4.0 25133 c7fe45cf4b819c5991fe208aaa96edf142730f1d)"
	.section	".note.GNU-stack","",@progbits
	.addrsig
	.addrsig_sym __hip_cuid_ad3dfb1eb2ee914d
	.amdgpu_metadata
---
amdhsa.kernels:
  - .args:
      - .actual_access:  read_only
        .address_space:  global
        .offset:         0
        .size:           8
        .value_kind:     global_buffer
      - .offset:         8
        .size:           8
        .value_kind:     by_value
      - .actual_access:  read_only
        .address_space:  global
        .offset:         16
        .size:           8
        .value_kind:     global_buffer
      - .actual_access:  read_only
        .address_space:  global
        .offset:         24
        .size:           8
        .value_kind:     global_buffer
      - .actual_access:  read_only
        .address_space:  global
        .offset:         32
        .size:           8
        .value_kind:     global_buffer
      - .offset:         40
        .size:           8
        .value_kind:     by_value
      - .actual_access:  read_only
        .address_space:  global
        .offset:         48
        .size:           8
        .value_kind:     global_buffer
      - .actual_access:  read_only
        .address_space:  global
        .offset:         56
        .size:           8
        .value_kind:     global_buffer
      - .offset:         64
        .size:           4
        .value_kind:     by_value
      - .actual_access:  read_only
        .address_space:  global
        .offset:         72
        .size:           8
        .value_kind:     global_buffer
      - .actual_access:  read_only
        .address_space:  global
        .offset:         80
        .size:           8
        .value_kind:     global_buffer
      - .actual_access:  read_only
        .address_space:  global
        .offset:         88
        .size:           8
        .value_kind:     global_buffer
      - .actual_access:  write_only
        .address_space:  global
        .offset:         96
        .size:           8
        .value_kind:     global_buffer
    .group_segment_fixed_size: 0
    .kernarg_segment_align: 8
    .kernarg_segment_size: 104
    .language:       OpenCL C
    .language_version:
      - 2
      - 0
    .max_flat_workgroup_size: 169
    .name:           fft_rtc_fwd_len2197_factors_13_13_13_wgs_169_tpt_169_halfLds_dp_op_CI_CI_unitstride_sbrr_dirReg
    .private_segment_fixed_size: 0
    .sgpr_count:     46
    .sgpr_spill_count: 0
    .symbol:         fft_rtc_fwd_len2197_factors_13_13_13_wgs_169_tpt_169_halfLds_dp_op_CI_CI_unitstride_sbrr_dirReg.kd
    .uniform_work_group_size: 1
    .uses_dynamic_stack: false
    .vgpr_count:     232
    .vgpr_spill_count: 0
    .wavefront_size: 32
    .workgroup_processor_mode: 1
amdhsa.target:   amdgcn-amd-amdhsa--gfx1030
amdhsa.version:
  - 1
  - 2
...

	.end_amdgpu_metadata
